;; amdgpu-corpus repo=ROCm/rocFFT kind=compiled arch=gfx1030 opt=O3
	.text
	.amdgcn_target "amdgcn-amd-amdhsa--gfx1030"
	.amdhsa_code_object_version 6
	.protected	bluestein_single_back_len17_dim1_half_op_CI_CI ; -- Begin function bluestein_single_back_len17_dim1_half_op_CI_CI
	.globl	bluestein_single_back_len17_dim1_half_op_CI_CI
	.p2align	8
	.type	bluestein_single_back_len17_dim1_half_op_CI_CI,@function
bluestein_single_back_len17_dim1_half_op_CI_CI: ; @bluestein_single_back_len17_dim1_half_op_CI_CI
; %bb.0:
	s_load_dwordx4 s[12:15], s[4:5], 0x28
	v_mad_u64_u32 v[20:21], null, 0x78, s6, v[0:1]
	v_mov_b32_e32 v21, 0
	s_mov_b32 s0, exec_lo
	s_waitcnt lgkmcnt(0)
	v_cmpx_gt_u64_e64 s[12:13], v[20:21]
	s_cbranch_execz .LBB0_2
; %bb.1:
	s_clause 0x2
	s_load_dwordx4 s[0:3], s[4:5], 0x18
	s_load_dwordx2 s[6:7], s[4:5], 0x0
	s_load_dwordx2 s[4:5], s[4:5], 0x38
	s_waitcnt lgkmcnt(0)
	s_load_dwordx4 s[8:11], s[0:1], 0x0
	s_waitcnt lgkmcnt(0)
	v_mad_u64_u32 v[22:23], null, s10, v20, 0
	s_lshl_b64 s[0:1], s[8:9], 2
	s_lshl_b64 s[12:13], s[8:9], 4
	;; [unrolled: 1-line block ×3, first 2 shown]
	v_mov_b32_e32 v0, v23
	v_mad_u64_u32 v[0:1], null, s11, v20, v[0:1]
	s_lshl_b64 s[10:11], s[8:9], 3
	v_mov_b32_e32 v23, v0
	s_clause 0x4
	global_load_dwordx4 v[16:19], v21, s[6:7]
	global_load_dwordx4 v[12:15], v21, s[6:7] offset:16
	global_load_dwordx4 v[8:11], v21, s[6:7] offset:32
	global_load_dwordx4 v[0:3], v21, s[6:7] offset:48
	global_load_dwordx4 v[4:7], v21, s[6:7] offset:64
	v_lshlrev_b64 v[22:23], 2, v[22:23]
	v_add_co_u32 v22, vcc_lo, s14, v22
	v_add_co_ci_u32_e32 v23, vcc_lo, s15, v23, vcc_lo
	s_lshl_b64 s[14:15], s[8:9], 6
	v_add_co_u32 v24, vcc_lo, v22, s0
	v_add_co_ci_u32_e32 v25, vcc_lo, s1, v23, vcc_lo
	v_add_co_u32 v26, vcc_lo, v22, s10
	v_add_co_ci_u32_e32 v27, vcc_lo, s11, v23, vcc_lo
	v_mad_u64_u32 v[28:29], null, s8, 12, v[22:23]
	v_add_co_u32 v30, vcc_lo, v22, s12
	v_mad_u64_u32 v[32:33], null, s8, 20, v[22:23]
	v_mad_u64_u32 v[34:35], null, s8, 24, v[22:23]
	;; [unrolled: 1-line block ×3, first 2 shown]
	v_add_co_ci_u32_e32 v31, vcc_lo, s13, v23, vcc_lo
	v_mad_u64_u32 v[40:41], null, s8, 36, v[22:23]
	v_add_co_u32 v38, vcc_lo, v22, s16
	v_add_co_ci_u32_e32 v39, vcc_lo, s17, v23, vcc_lo
	v_mad_u64_u32 v[52:53], null, s8, 60, v[22:23]
	v_mad_u64_u32 v[44:45], null, s8, 44, v[22:23]
	;; [unrolled: 1-line block ×3, first 2 shown]
	v_add_co_u32 v54, vcc_lo, v22, s14
	v_mad_u64_u32 v[42:43], null, s8, 40, v[22:23]
	v_mad_u64_u32 v[46:47], null, s8, 48, v[22:23]
	;; [unrolled: 1-line block ×3, first 2 shown]
	v_add_co_ci_u32_e32 v55, vcc_lo, s15, v23, vcc_lo
	s_clause 0x5
	global_load_dword v57, v[22:23], off
	global_load_dword v58, v[24:25], off
	;; [unrolled: 1-line block ×6, first 2 shown]
	v_mov_b32_e32 v22, v29
	v_mov_b32_e32 v23, v33
	;; [unrolled: 1-line block ×6, first 2 shown]
	v_mad_u64_u32 v[53:54], null, s9, 12, v[22:23]
	v_mad_u64_u32 v[22:23], null, s9, 20, v[23:24]
	v_mov_b32_e32 v29, v45
	v_mov_b32_e32 v30, v49
	v_mad_u64_u32 v[23:24], null, s9, 24, v[24:25]
	v_mov_b32_e32 v27, v43
	v_mov_b32_e32 v31, v47
	v_mad_u64_u32 v[24:25], null, s9, 28, v[25:26]
	v_mov_b32_e32 v38, v51
	v_mad_u64_u32 v[54:55], null, s9, 44, v[29:30]
	v_mad_u64_u32 v[25:26], null, s9, 36, v[26:27]
	;; [unrolled: 1-line block ×5, first 2 shown]
	v_mov_b32_e32 v33, v22
	v_mov_b32_e32 v35, v23
	v_mad_u64_u32 v[22:23], null, s9, 56, v[38:39]
	v_mov_b32_e32 v37, v24
	v_mad_u64_u32 v[23:24], null, s9, 60, v[39:40]
	v_mov_b32_e32 v29, v53
	v_mov_b32_e32 v41, v25
	;; [unrolled: 1-line block ×8, first 2 shown]
	s_clause 0xa
	global_load_dword v27, v[28:29], off
	global_load_dword v56, v[32:33], off
	;; [unrolled: 1-line block ×11, first 2 shown]
	v_mul_hi_u32 v28, 0x88888889, v20
	v_mov_b32_e32 v41, 0xffff
	s_load_dwordx4 s[8:11], s[2:3], 0x0
	s_mov_b32 s2, 0x1e1e1e1e
	s_mov_b32 s3, 0x3fae1e1e
	v_lshrrev_b32_e32 v28, 6, v28
	v_mul_lo_u32 v28, 0x78, v28
	v_sub_nc_u32_e32 v28, v20, v28
	v_mul_u32_u24_e32 v29, 0x44, v28
	s_waitcnt vmcnt(21)
	v_lshrrev_b32_e32 v36, 16, v17
	v_and_b32_e32 v42, 0xffff, v16
	v_and_b32_sdwa v43, v41, v16 dst_sel:DWORD dst_unused:UNUSED_PAD src0_sel:DWORD src1_sel:WORD_1
	v_lshrrev_b32_e32 v35, 16, v19
	v_and_b32_e32 v44, 0xffff, v18
	v_and_b32_sdwa v45, v41, v18 dst_sel:DWORD dst_unused:UNUSED_PAD src0_sel:DWORD src1_sel:WORD_1
	v_lshl_or_b32 v42, v17, 16, v42
	v_lshl_or_b32 v43, v36, 16, v43
	s_waitcnt vmcnt(20)
	v_and_b32_sdwa v47, v41, v12 dst_sel:DWORD dst_unused:UNUSED_PAD src0_sel:DWORD src1_sel:WORD_1
	v_and_b32_sdwa v48, v41, v14 dst_sel:DWORD dst_unused:UNUSED_PAD src0_sel:DWORD src1_sel:WORD_1
	s_waitcnt vmcnt(19)
	v_and_b32_sdwa v49, v41, v8 dst_sel:DWORD dst_unused:UNUSED_PAD src0_sel:DWORD src1_sel:WORD_1
	v_and_b32_sdwa v50, v41, v10 dst_sel:DWORD dst_unused:UNUSED_PAD src0_sel:DWORD src1_sel:WORD_1
	s_waitcnt vmcnt(18)
	v_lshrrev_b32_e32 v30, 16, v3
	v_and_b32_sdwa v51, v41, v0 dst_sel:DWORD dst_unused:UNUSED_PAD src0_sel:DWORD src1_sel:WORD_1
	v_and_b32_sdwa v41, v41, v2 dst_sel:DWORD dst_unused:UNUSED_PAD src0_sel:DWORD src1_sel:WORD_1
	v_lshrrev_b32_e32 v34, 16, v13
	v_lshrrev_b32_e32 v28, 16, v15
	v_and_b32_e32 v46, 0xffff, v12
	v_lshrrev_b32_e32 v33, 16, v9
	v_and_b32_e32 v52, 0xffff, v14
	;; [unrolled: 2-line block ×4, first 2 shown]
	v_and_b32_e32 v55, 0xffff, v0
	v_and_b32_e32 v63, 0xffff, v2
	v_lshl_or_b32 v45, v35, 16, v45
	v_lshl_or_b32 v41, v30, 16, v41
	v_lshl_or_b32 v44, v19, 16, v44
	v_lshl_or_b32 v47, v34, 16, v47
	v_lshl_or_b32 v48, v28, 16, v48
	v_lshl_or_b32 v46, v13, 16, v46
	v_lshl_or_b32 v49, v33, 16, v49
	v_lshl_or_b32 v52, v15, 16, v52
	v_lshl_or_b32 v50, v32, 16, v50
	v_lshl_or_b32 v53, v9, 16, v53
	v_lshl_or_b32 v51, v31, 16, v51
	v_lshl_or_b32 v54, v11, 16, v54
	v_lshl_or_b32 v55, v1, 16, v55
	v_lshl_or_b32 v63, v3, 16, v63
	s_waitcnt vmcnt(16)
	v_mul_f16_sdwa v64, v16, v57 dst_sel:DWORD dst_unused:UNUSED_PAD src0_sel:WORD_1 src1_sel:WORD_1
	s_waitcnt vmcnt(15)
	v_bfi_b32 v65, 0xffff, v57, v58
	v_alignbit_b32 v66, v58, v57, 16
	v_lshrrev_b32_e32 v67, 16, v58
	v_mul_f16_e32 v58, v36, v58
	v_fmac_f16_e32 v64, v16, v57
	s_waitcnt vmcnt(11)
	v_lshrrev_b32_e32 v57, 16, v62
	v_pk_mul_f16 v43, v43, v65
	v_pk_mul_f16 v65, v42, v66
	v_mul_f16_sdwa v69, v4, v62 dst_sel:DWORD dst_unused:UNUSED_PAD src0_sel:WORD_1 src1_sel:DWORD
	v_fma_f16 v58, v17, v67, -v58
	v_mul_f16_sdwa v70, v4, v57 dst_sel:DWORD dst_unused:UNUSED_PAD src0_sel:WORD_1 src1_sel:DWORD
	v_pk_fma_f16 v42, v42, v66, v43
	v_sub_f16_e32 v43, v65, v43
	v_fma_f16 v57, v4, v57, -v69
	v_mul_f16_sdwa v68, v18, v59 dst_sel:DWORD dst_unused:UNUSED_PAD src0_sel:WORD_1 src1_sel:WORD_1
	v_fmac_f16_e32 v70, v4, v62
	v_alignbit_b32 v42, v58, v42, 16
	v_pack_b32_f16 v43, v64, v43
	v_mul_f16_sdwa v62, v12, v60 dst_sel:DWORD dst_unused:UNUSED_PAD src0_sel:WORD_1 src1_sel:WORD_1
	v_mul_f16_sdwa v65, v8, v61 dst_sel:DWORD dst_unused:UNUSED_PAD src0_sel:WORD_1 src1_sel:WORD_1
	v_pack_b32_f16 v57, v70, v57
	ds_write2_b32 v29, v43, v42 offset1:1
	ds_write_b32 v29, v57 offset:64
	v_fmac_f16_e32 v68, v18, v59
	v_fmac_f16_e32 v62, v12, v60
	v_fmac_f16_e32 v65, v8, v61
	s_waitcnt vmcnt(10)
	v_bfi_b32 v43, 0xffff, v59, v27
	v_alignbit_b32 v57, v27, v59, 16
	v_lshrrev_b32_e32 v42, 16, v27
	v_mul_f16_e32 v27, v35, v27
	s_waitcnt vmcnt(1)
	v_mul_f16_sdwa v80, v2, v39 dst_sel:DWORD dst_unused:UNUSED_PAD src0_sel:WORD_1 src1_sel:WORD_1
	s_waitcnt vmcnt(0)
	v_bfi_b32 v82, 0xffff, v39, v40
	v_bfi_b32 v59, 0xffff, v60, v56
	v_alignbit_b32 v60, v56, v60, 16
	v_bfi_b32 v66, 0xffff, v25, v37
	v_mul_f16_sdwa v69, v14, v25 dst_sel:DWORD dst_unused:UNUSED_PAD src0_sel:WORD_1 src1_sel:WORD_1
	v_alignbit_b32 v67, v37, v25, 16
	v_bfi_b32 v71, 0xffff, v61, v24
	v_alignbit_b32 v61, v24, v61, 16
	v_bfi_b32 v73, 0xffff, v38, v26
	v_mul_f16_sdwa v74, v10, v38 dst_sel:DWORD dst_unused:UNUSED_PAD src0_sel:WORD_1 src1_sel:WORD_1
	v_lshrrev_b32_e32 v58, 16, v56
	v_mul_f16_e32 v56, v34, v56
	v_alignbit_b32 v75, v26, v38, 16
	v_mul_f16_sdwa v77, v0, v23 dst_sel:DWORD dst_unused:UNUSED_PAD src0_sel:WORD_1 src1_sel:WORD_1
	v_bfi_b32 v78, 0xffff, v23, v22
	v_alignbit_b32 v79, v22, v23, 16
	v_alignbit_b32 v83, v40, v39, 16
	v_pk_mul_f16 v43, v45, v43
	v_fmac_f16_e32 v80, v2, v39
	v_pk_mul_f16 v39, v41, v82
	v_pk_mul_f16 v41, v44, v57
	v_fma_f16 v27, v19, v42, -v27
	v_pk_mul_f16 v42, v47, v59
	v_fmac_f16_e32 v69, v14, v25
	v_pk_mul_f16 v25, v48, v66
	v_pk_mul_f16 v48, v46, v60
	v_lshrrev_b32_e32 v64, 16, v37
	v_mul_f16_e32 v37, v28, v37
	v_pk_mul_f16 v47, v49, v71
	v_pk_mul_f16 v49, v52, v67
	v_lshrrev_b32_e32 v70, 16, v24
	v_mul_f16_e32 v24, v33, v24
	v_fmac_f16_e32 v74, v10, v38
	v_pk_mul_f16 v38, v50, v73
	v_pk_mul_f16 v50, v53, v61
	v_lshrrev_b32_e32 v72, 16, v26
	v_mul_f16_e32 v26, v32, v26
	v_lshrrev_b32_e32 v76, 16, v22
	v_mul_f16_e32 v22, v31, v22
	v_fma_f16 v45, v13, v58, -v56
	v_fmac_f16_e32 v77, v0, v23
	v_pk_mul_f16 v23, v51, v78
	v_pk_mul_f16 v51, v54, v75
	;; [unrolled: 1-line block ×3, first 2 shown]
	v_lshrrev_b32_e32 v81, 16, v40
	v_mul_f16_e32 v40, v30, v40
	v_pk_mul_f16 v58, v63, v83
	v_pk_fma_f16 v44, v44, v57, v43
	v_sub_f16_e32 v41, v41, v43
	v_pk_fma_f16 v43, v46, v60, v42
	v_sub_f16_e32 v42, v48, v42
	v_fma_f16 v37, v15, v64, -v37
	v_pk_fma_f16 v46, v52, v67, v25
	v_sub_f16_e32 v25, v49, v25
	v_fma_f16 v24, v9, v70, -v24
	;; [unrolled: 3-line block ×3, first 2 shown]
	v_fma_f16 v22, v1, v76, -v22
	v_pk_fma_f16 v49, v54, v75, v38
	v_sub_f16_e32 v38, v51, v38
	v_pk_fma_f16 v50, v55, v79, v23
	v_sub_f16_e32 v23, v56, v23
	v_fma_f16 v40, v3, v81, -v40
	v_pk_fma_f16 v51, v63, v83, v39
	v_sub_f16_e32 v39, v58, v39
	v_alignbit_b32 v27, v27, v44, 16
	v_pack_b32_f16 v41, v68, v41
	v_alignbit_b32 v43, v45, v43, 16
	v_pack_b32_f16 v42, v62, v42
	;; [unrolled: 2-line block ×7, first 2 shown]
	ds_write2_b32 v29, v41, v27 offset0:2 offset1:3
	ds_write2_b32 v29, v42, v43 offset0:4 offset1:5
	;; [unrolled: 1-line block ×7, first 2 shown]
	s_waitcnt lgkmcnt(0)
	s_barrier
	buffer_gl0_inv
	ds_read_b32 v49, v29
	ds_read2_b32 v[26:27], v29 offset0:1 offset1:2
	ds_read2_b32 v[24:25], v29 offset0:3 offset1:4
	;; [unrolled: 1-line block ×8, first 2 shown]
	s_waitcnt lgkmcnt(7)
	v_add_f16_e32 v72, v26, v49
	v_add_f16_sdwa v73, v26, v49 dst_sel:DWORD dst_unused:UNUSED_PAD src0_sel:WORD_1 src1_sel:WORD_1
	s_waitcnt lgkmcnt(4)
	v_add_f16_e32 v58, v63, v24
	v_add_f16_sdwa v59, v63, v24 dst_sel:DWORD dst_unused:UNUSED_PAD src0_sel:WORD_1 src1_sel:WORD_1
	v_add_f16_e32 v72, v72, v27
	v_sub_f16_e32 v61, v24, v63
	s_waitcnt lgkmcnt(0)
	v_add_f16_e32 v77, v70, v27
	v_add_f16_sdwa v78, v70, v27 dst_sel:DWORD dst_unused:UNUSED_PAD src0_sel:WORD_1 src1_sel:WORD_1
	v_sub_f16_e32 v79, v27, v70
	v_sub_f16_sdwa v80, v27, v70 dst_sel:DWORD dst_unused:UNUSED_PAD src0_sel:WORD_1 src1_sel:WORD_1
	v_add_f16_sdwa v27, v73, v27 dst_sel:DWORD dst_unused:UNUSED_PAD src0_sel:DWORD src1_sel:WORD_1
	v_sub_f16_sdwa v60, v24, v63 dst_sel:DWORD dst_unused:UNUSED_PAD src0_sel:WORD_1 src1_sel:WORD_1
	v_add_f16_e32 v72, v72, v24
	v_add_f16_e32 v51, v65, v22
	v_add_f16_sdwa v50, v65, v22 dst_sel:DWORD dst_unused:UNUSED_PAD src0_sel:WORD_1 src1_sel:WORD_1
	v_add_f16_sdwa v24, v27, v24 dst_sel:DWORD dst_unused:UNUSED_PAD src0_sel:DWORD src1_sel:WORD_1
	v_sub_f16_e32 v53, v22, v65
	v_add_f16_e32 v72, v72, v25
	v_sub_f16_sdwa v52, v22, v65 dst_sel:DWORD dst_unused:UNUSED_PAD src0_sel:WORD_1 src1_sel:WORD_1
	v_add_f16_e32 v74, v71, v26
	v_add_f16_sdwa v24, v24, v25 dst_sel:DWORD dst_unused:UNUSED_PAD src0_sel:DWORD src1_sel:WORD_1
	v_add_f16_sdwa v75, v71, v26 dst_sel:DWORD dst_unused:UNUSED_PAD src0_sel:WORD_1 src1_sel:WORD_1
	v_add_f16_e32 v72, v72, v22
	v_sub_f16_e32 v76, v26, v71
	v_sub_f16_sdwa v26, v26, v71 dst_sel:DWORD dst_unused:UNUSED_PAD src0_sel:WORD_1 src1_sel:WORD_1
	v_add_f16_sdwa v22, v24, v22 dst_sel:DWORD dst_unused:UNUSED_PAD src0_sel:DWORD src1_sel:WORD_1
	v_mul_f16_e32 v94, 0xb964, v80
	v_add_f16_e32 v72, v72, v23
	v_pack_b32_f16 v87, v76, v74
	v_mul_f16_e32 v73, 0xb5c8, v26
	v_add_f16_sdwa v22, v22, v23 dst_sel:DWORD dst_unused:UNUSED_PAD src0_sel:DWORD src1_sel:WORD_1
	v_mul_f16_e32 v81, 0xb964, v26
	v_add_f16_e32 v72, v72, v66
	v_mul_f16_e32 v82, 0xbb29, v26
	v_mul_f16_e32 v83, 0xbbf7, v26
	v_add_f16_sdwa v22, v22, v66 dst_sel:DWORD dst_unused:UNUSED_PAD src0_sel:DWORD src1_sel:WORD_1
	v_mul_f16_e32 v84, 0xbbb2, v26
	v_add_f16_e32 v72, v72, v67
	v_mul_f16_e32 v85, 0xba62, v26
	;; [unrolled: 5-line block ×3, first 2 shown]
	v_mul_f16_e32 v90, 0xbb29, v76
	v_add_f16_sdwa v22, v22, v68 dst_sel:DWORD dst_unused:UNUSED_PAD src0_sel:DWORD src1_sel:WORD_1
	v_mul_f16_e32 v91, 0xbbf7, v76
	v_mul_f16_e32 v92, 0xbbb2, v76
	;; [unrolled: 1-line block ×10, first 2 shown]
	v_pack_b32_f16 v101, v79, v77
	v_mul_f16_e32 v102, 0xb964, v79
	v_mul_f16_e32 v103, 0xbbf7, v79
	;; [unrolled: 1-line block ×7, first 2 shown]
	v_add_f16_e32 v72, v72, v69
	v_add_f16_sdwa v22, v22, v69 dst_sel:DWORD dst_unused:UNUSED_PAD src0_sel:DWORD src1_sel:WORD_1
	v_add_f16_e32 v42, v69, v66
	v_add_f16_sdwa v41, v69, v66 dst_sel:DWORD dst_unused:UNUSED_PAD src0_sel:WORD_1 src1_sel:WORD_1
	v_sub_f16_e32 v44, v66, v69
	v_sub_f16_sdwa v43, v66, v69 dst_sel:DWORD dst_unused:UNUSED_PAD src0_sel:WORD_1 src1_sel:WORD_1
	v_add_f16_e32 v37, v68, v67
	v_add_f16_sdwa v38, v68, v67 dst_sel:DWORD dst_unused:UNUSED_PAD src0_sel:WORD_1 src1_sel:WORD_1
	v_sub_f16_e32 v40, v67, v68
	v_sub_f16_sdwa v39, v67, v68 dst_sel:DWORD dst_unused:UNUSED_PAD src0_sel:WORD_1 src1_sel:WORD_1
	;; [unrolled: 4-line block ×4, first 2 shown]
	v_pack_b32_f16 v26, v75, v26
	v_pack_b32_f16 v80, v78, v80
	v_fma_f16 v27, v74, 0x3b76, -v73
	v_fmac_f16_e32 v73, 0x3b76, v74
	v_fma_f16 v108, v74, 0x39e9, -v81
	v_fmac_f16_e32 v81, 0x39e9, v74
	;; [unrolled: 2-line block ×7, first 2 shown]
	v_fmamk_f16 v74, v75, 0x3b76, v88
	v_fma_f16 v88, v75, 0x3b76, -v88
	v_fmamk_f16 v114, v75, 0x39e9, v89
	v_fma_f16 v89, v75, 0x39e9, -v89
	;; [unrolled: 2-line block ×7, first 2 shown]
	v_fma_f16 v76, v77, 0x39e9, -v94
	v_fmac_f16_e32 v94, 0x39e9, v77
	v_fma_f16 v120, v77, 0x2de8, -v95
	v_fmac_f16_e32 v95, 0x2de8, v77
	v_fma_f16 v121, v77, 0xb8d2, -v96
	v_fmac_f16_e32 v96, 0xb8d2, v77
	v_fma_f16 v25, v77, 0xbbdd, -v97
	v_fmac_f16_e32 v97, 0xbbdd, v77
	v_fma_f16 v122, v77, 0xbacd, -v98
	v_fmac_f16_e32 v98, 0xbacd, v77
	v_fma_f16 v24, v77, 0xb461, -v99
	v_fmac_f16_e32 v99, 0xb461, v77
	v_fma_f16 v23, v77, 0x3722, -v100
	v_fmac_f16_e32 v100, 0x3722, v77
	v_fmamk_f16 v77, v78, 0x39e9, v102
	v_fma_f16 v66, v78, 0x39e9, -v102
	v_fmamk_f16 v102, v78, 0x2de8, v103
	v_fma_f16 v103, v78, 0x2de8, -v103
	;; [unrolled: 2-line block ×7, first 2 shown]
	v_pk_mul_f16 v79, 0xbbddb1e1, v87
	v_add_f16_e32 v72, v72, v64
	v_add_f16_sdwa v22, v22, v64 dst_sel:DWORD dst_unused:UNUSED_PAD src0_sel:DWORD src1_sel:WORD_1
	v_add_f16_e32 v27, v27, v49
	v_add_f16_sdwa v74, v74, v49 dst_sel:DWORD dst_unused:UNUSED_PAD src0_sel:DWORD src1_sel:WORD_1
	v_pk_fma_f16 v87, 0xb1e1bbdd, v26, v79 neg_lo:[0,1,0] neg_hi:[0,1,0]
	v_pk_fma_f16 v127, 0xb1e1bbdd, v26, v79
	v_pk_fma_f16 v26, 0xb1e1bbdd, v26, v79 neg_lo:[0,0,1] neg_hi:[0,0,1]
	v_pk_mul_f16 v79, 0x3b7635c8, v101
	v_add_f16_e32 v72, v72, v65
	v_add_f16_sdwa v22, v22, v65 dst_sel:DWORD dst_unused:UNUSED_PAD src0_sel:DWORD src1_sel:WORD_1
	v_add_f16_e32 v73, v73, v49
	v_add_f16_e32 v81, v81, v49
	v_pk_fma_f16 v101, 0x35c83b76, v80, v79 neg_lo:[0,1,0] neg_hi:[0,1,0]
	v_pk_fma_f16 v128, 0x35c83b76, v80, v79
	v_pk_fma_f16 v79, 0x35c83b76, v80, v79 neg_lo:[0,0,1] neg_hi:[0,0,1]
	v_add_f16_sdwa v80, v88, v49 dst_sel:DWORD dst_unused:UNUSED_PAD src0_sel:DWORD src1_sel:WORD_1
	v_add_f16_e32 v88, v108, v49
	v_add_f16_e32 v72, v72, v62
	v_add_f16_sdwa v22, v22, v62 dst_sel:DWORD dst_unused:UNUSED_PAD src0_sel:DWORD src1_sel:WORD_1
	v_add_f16_sdwa v108, v114, v49 dst_sel:DWORD dst_unused:UNUSED_PAD src0_sel:DWORD src1_sel:WORD_1
	;; [unrolled: 1-line block ×3, first 2 shown]
	v_add_f16_e32 v109, v109, v49
	v_add_f16_sdwa v114, v115, v49 dst_sel:DWORD dst_unused:UNUSED_PAD src0_sel:DWORD src1_sel:WORD_1
	v_add_f16_e32 v82, v82, v49
	v_add_f16_sdwa v90, v90, v49 dst_sel:DWORD dst_unused:UNUSED_PAD src0_sel:DWORD src1_sel:WORD_1
	;; [unrolled: 2-line block ×10, first 2 shown]
	v_pk_add_f16 v87, v87, v49 op_sel:[0,1] op_sel_hi:[1,0]
	v_pk_add_f16 v119, v127, v49 op_sel:[0,1] op_sel_hi:[1,0]
	;; [unrolled: 1-line block ×3, first 2 shown]
	v_add_f16_e32 v27, v76, v27
	v_add_f16_e32 v49, v77, v74
	v_mul_f16_e32 v74, 0xbb29, v60
	v_add_f16_e32 v76, v120, v88
	v_mul_f16_e32 v88, 0xba62, v60
	v_add_f16_e32 v72, v72, v63
	v_add_f16_sdwa v22, v22, v63 dst_sel:DWORD dst_unused:UNUSED_PAD src0_sel:DWORD src1_sel:WORD_1
	v_add_f16_e32 v73, v94, v73
	v_add_f16_e32 v66, v66, v80
	v_mul_f16_e32 v77, 0xbb29, v61
	v_add_f16_e32 v80, v102, v108
	v_add_f16_e32 v81, v95, v81
	v_mul_f16_e32 v94, 0xba62, v61
	v_fma_f16 v95, v58, 0x3722, -v74
	v_fmac_f16_e32 v74, 0x3722, v58
	v_fma_f16 v108, v58, 0xb8d2, -v88
	v_add_f16_e32 v72, v72, v70
	v_add_f16_sdwa v22, v22, v70 dst_sel:DWORD dst_unused:UNUSED_PAD src0_sel:DWORD src1_sel:WORD_1
	v_add_f16_e32 v89, v103, v89
	v_fmamk_f16 v103, v59, 0x3722, v77
	v_fma_f16 v77, v59, 0x3722, -v77
	v_fmamk_f16 v63, v59, 0xb8d2, v94
	v_add_f16_e32 v70, v74, v73
	v_add_f16_e32 v72, v72, v71
	v_add_f16_sdwa v22, v22, v71 dst_sel:WORD_1 dst_unused:UNUSED_PAD src0_sel:DWORD src1_sel:WORD_1
	v_add_f16_e32 v71, v108, v76
	v_mul_f16_e32 v73, 0x31e1, v60
	v_mul_f16_e32 v76, 0x31e1, v61
	v_add_f16_e32 v67, v67, v114
	v_add_f16_e32 v82, v96, v82
	v_pk_add_f16 v26, v79, v26
	v_add_f16_e32 v66, v77, v66
	v_add_f16_e32 v63, v63, v80
	v_fmac_f16_e32 v88, 0xb8d2, v58
	v_fma_f16 v77, v58, 0xbbdd, -v73
	v_fmamk_f16 v79, v59, 0xbbdd, v76
	v_mul_f16_e32 v80, 0x3bb2, v60
	v_fmac_f16_e32 v73, 0xbbdd, v58
	v_add_f16_e32 v25, v25, v110
	v_or_b32_sdwa v22, v22, v72 dst_sel:DWORD dst_unused:UNUSED_PAD src0_sel:DWORD src1_sel:WORD_0
	v_add_f16_e32 v72, v88, v81
	v_add_f16_e32 v67, v79, v67
	v_mul_f16_e32 v79, 0x3bb2, v61
	v_fma_f16 v81, v58, 0xb461, -v80
	v_add_f16_e32 v73, v73, v82
	v_mul_f16_e32 v82, 0x3964, v60
	v_add_f16_e32 v68, v123, v115
	v_add_f16_e32 v69, v122, v111
	v_fmamk_f16 v88, v59, 0xb461, v79
	v_add_f16_e32 v25, v81, v25
	v_fma_f16 v81, v58, 0x39e9, -v82
	v_add_f16_e32 v90, v104, v90
	v_add_f16_e32 v83, v97, v83
	v_fma_f16 v74, v59, 0xb8d2, -v94
	v_fma_f16 v76, v59, 0xbbdd, -v76
	v_fmac_f16_e32 v80, 0xb461, v58
	v_add_f16_e32 v68, v88, v68
	v_mul_f16_e32 v88, 0x3964, v61
	v_add_f16_e32 v69, v81, v69
	v_mul_f16_e32 v81, 0xb5c8, v60
	v_add_f16_e32 v91, v105, v91
	v_add_f16_e32 v64, v106, v92
	;; [unrolled: 1-line block ×5, first 2 shown]
	v_fma_f16 v79, v59, 0xb461, -v79
	v_add_f16_e32 v80, v80, v83
	v_fmamk_f16 v83, v59, 0x39e9, v88
	v_mul_f16_e32 v89, 0xb5c8, v61
	v_fma_f16 v88, v59, 0x39e9, -v88
	v_fma_f16 v90, v58, 0x3b76, -v81
	v_add_f16_e32 v65, v99, v85
	v_add_f16_e32 v85, v107, v93
	;; [unrolled: 1-line block ×3, first 2 shown]
	v_fmamk_f16 v91, v59, 0x3b76, v89
	v_add_f16_e32 v64, v88, v64
	v_add_f16_e32 v24, v90, v24
	v_fmac_f16_e32 v81, 0x3b76, v58
	v_mul_f16_e32 v88, 0xbbf7, v60
	v_fma_f16 v89, v59, 0x3b76, -v89
	v_mul_f16_e32 v90, 0xbbf7, v61
	v_pack_b32_f16 v61, v61, v58
	v_add_f16_e32 v23, v23, v113
	v_add_f16_e32 v62, v126, v118
	;; [unrolled: 1-line block ×4, first 2 shown]
	v_fma_f16 v81, v58, 0x2de8, -v88
	v_add_f16_e32 v85, v89, v85
	v_fmamk_f16 v89, v59, 0x2de8, v90
	v_pack_b32_f16 v60, v59, v60
	v_pk_mul_f16 v61, 0xbacdb836, v61
	v_fma_f16 v59, v59, 0x2de8, -v90
	v_pk_add_f16 v78, v101, v87
	v_pk_add_f16 v87, v128, v119
	v_fmac_f16_e32 v82, 0x39e9, v58
	v_add_f16_e32 v23, v81, v23
	v_fmac_f16_e32 v88, 0x2de8, v58
	v_add_f16_e32 v58, v89, v62
	v_pk_fma_f16 v62, 0xb836bacd, v60, v61 neg_lo:[0,1,0] neg_hi:[0,1,0]
	v_pk_fma_f16 v81, 0xb836bacd, v60, v61
	v_pk_fma_f16 v60, 0xb836bacd, v60, v61 neg_lo:[0,0,1] neg_hi:[0,0,1]
	v_mul_f16_e32 v61, 0xbbf7, v56
	v_add_f16_e32 v59, v59, v75
	v_mul_f16_e32 v75, 0xbbf7, v57
	v_add_f16_e32 v27, v95, v27
	v_add_f16_e32 v49, v103, v49
	v_pk_add_f16 v62, v62, v78
	v_fma_f16 v78, v55, 0x2de8, -v61
	v_pk_add_f16 v81, v81, v87
	v_pk_add_f16 v26, v60, v26
	v_mul_f16_e32 v60, 0xb1e1, v56
	v_fmamk_f16 v87, v54, 0x2de8, v75
	v_add_f16_e32 v27, v78, v27
	v_fmac_f16_e32 v61, 0x2de8, v55
	v_fma_f16 v75, v54, 0x2de8, -v75
	v_fma_f16 v78, v55, 0xbbdd, -v60
	v_add_f16_e32 v49, v87, v49
	v_mul_f16_e32 v87, 0xb1e1, v57
	v_add_f16_e32 v102, v121, v109
	v_add_f16_e32 v86, v100, v86
	;; [unrolled: 1-line block ×5, first 2 shown]
	v_mul_f16_e32 v71, 0x3bb2, v56
	v_fmamk_f16 v75, v54, 0xbbdd, v87
	v_fmac_f16_e32 v60, 0xbbdd, v55
	v_fma_f16 v78, v54, 0xbbdd, -v87
	v_mul_f16_e32 v87, 0x3bb2, v57
	v_add_f16_e32 v77, v77, v102
	v_add_f16_e32 v86, v88, v86
	v_fma_f16 v88, v55, 0xb461, -v71
	v_add_f16_e32 v60, v60, v72
	v_add_f16_e32 v72, v78, v74
	v_fmamk_f16 v74, v54, 0xb461, v87
	v_add_f16_e32 v63, v75, v63
	v_add_f16_e32 v75, v88, v77
	v_mul_f16_e32 v77, 0x35c8, v56
	v_fmac_f16_e32 v71, 0xb461, v55
	v_fma_f16 v78, v54, 0xb461, -v87
	v_add_f16_e32 v67, v74, v67
	v_mul_f16_e32 v74, 0x35c8, v57
	v_fma_f16 v87, v55, 0x3b76, -v77
	v_add_f16_e32 v71, v71, v73
	v_add_f16_e32 v73, v78, v76
	v_mul_f16_e32 v76, 0xbb29, v56
	v_fmamk_f16 v78, v54, 0x3b76, v74
	v_add_f16_e32 v96, v124, v116
	v_add_f16_e32 v25, v87, v25
	v_fmac_f16_e32 v77, 0x3b76, v55
	v_fma_f16 v87, v55, 0x3722, -v76
	v_add_f16_e32 v68, v78, v68
	v_mul_f16_e32 v78, 0xbb29, v57
	v_add_f16_e32 v84, v98, v84
	v_add_f16_e32 v92, v125, v117
	;; [unrolled: 1-line block ×3, first 2 shown]
	v_fma_f16 v74, v54, 0x3b76, -v74
	v_add_f16_e32 v77, v77, v80
	v_add_f16_e32 v69, v87, v69
	v_fmamk_f16 v80, v54, 0x3722, v78
	v_mul_f16_e32 v87, 0xb836, v57
	v_add_f16_e32 v82, v82, v84
	v_add_f16_e32 v84, v91, v92
	v_add_f16_e32 v74, v74, v79
	v_mul_f16_e32 v79, 0xb836, v56
	v_fmac_f16_e32 v76, 0x3722, v55
	v_fma_f16 v78, v54, 0x3722, -v78
	v_add_f16_e32 v80, v80, v83
	v_fmamk_f16 v83, v54, 0xbacd, v87
	v_fma_f16 v88, v55, 0xbacd, -v79
	v_add_f16_e32 v76, v76, v82
	v_add_f16_e32 v64, v78, v64
	v_fmac_f16_e32 v79, 0xbacd, v55
	v_add_f16_e32 v78, v83, v84
	v_mul_f16_e32 v82, 0x3a62, v56
	v_fma_f16 v83, v54, 0xbacd, -v87
	v_mul_f16_e32 v84, 0x3a62, v57
	v_pack_b32_f16 v57, v57, v55
	v_add_f16_e32 v65, v79, v65
	v_fma_f16 v79, v55, 0xb8d2, -v82
	v_add_f16_e32 v83, v83, v85
	v_fmamk_f16 v85, v54, 0xb8d2, v84
	v_pack_b32_f16 v56, v54, v56
	v_pk_mul_f16 v57, 0x39e93964, v57
	v_fma_f16 v54, v54, 0xb8d2, -v84
	v_add_f16_e32 v23, v79, v23
	v_fmac_f16_e32 v82, 0xb8d2, v55
	v_add_f16_e32 v55, v85, v58
	v_pk_fma_f16 v58, 0x396439e9, v56, v57 neg_lo:[0,1,0] neg_hi:[0,1,0]
	v_pk_fma_f16 v79, 0x396439e9, v56, v57
	v_pk_fma_f16 v56, 0x396439e9, v56, v57 neg_lo:[0,0,1] neg_hi:[0,0,1]
	v_mul_f16_e32 v57, 0xbbb2, v52
	v_add_f16_e32 v54, v54, v59
	v_mul_f16_e32 v59, 0xbbb2, v53
	v_pk_add_f16 v58, v58, v62
	v_pk_add_f16 v79, v79, v81
	v_fma_f16 v62, v51, 0xb461, -v57
	v_pk_add_f16 v26, v56, v26
	v_mul_f16_e32 v56, 0x3836, v52
	v_fmamk_f16 v81, v50, 0xb461, v59
	v_fmac_f16_e32 v57, 0xb461, v51
	v_add_f16_e32 v27, v62, v27
	v_fma_f16 v59, v50, 0xb461, -v59
	v_fma_f16 v62, v51, 0xbacd, -v56
	v_add_f16_e32 v49, v81, v49
	v_mul_f16_e32 v81, 0x3836, v53
	v_add_f16_e32 v57, v57, v61
	v_add_f16_e32 v59, v59, v66
	;; [unrolled: 1-line block ×3, first 2 shown]
	v_mul_f16_e32 v62, 0x3964, v52
	v_fmamk_f16 v66, v50, 0xbacd, v81
	v_fma_f16 v70, v50, 0xbacd, -v81
	v_mul_f16_e32 v81, 0x3964, v53
	v_fmac_f16_e32 v56, 0xbacd, v51
	v_fma_f16 v84, v51, 0x39e9, -v62
	v_add_f16_e32 v63, v66, v63
	v_fmac_f16_e32 v62, 0x39e9, v51
	v_fmamk_f16 v66, v50, 0x39e9, v81
	v_add_f16_e32 v56, v56, v60
	v_add_f16_e32 v60, v70, v72
	v_add_f16_e32 v70, v84, v75
	v_mul_f16_e32 v72, 0xbb29, v52
	v_fma_f16 v75, v50, 0x39e9, -v81
	v_add_f16_e32 v66, v66, v67
	v_mul_f16_e32 v67, 0xbb29, v53
	v_add_f16_e32 v62, v62, v71
	v_fma_f16 v81, v51, 0x3722, -v72
	v_add_f16_e32 v71, v75, v73
	v_mul_f16_e32 v73, 0xb1e1, v52
	v_fmamk_f16 v75, v50, 0x3722, v67
	v_fmac_f16_e32 v72, 0x3722, v51
	v_add_f16_e32 v25, v81, v25
	v_fma_f16 v67, v50, 0x3722, -v67
	v_fma_f16 v81, v51, 0xbbdd, -v73
	v_add_f16_e32 v68, v75, v68
	v_mul_f16_e32 v75, 0xb1e1, v53
	v_add_f16_e32 v72, v72, v77
	v_add_f16_e32 v67, v67, v74
	v_add_f16_e32 v69, v81, v69
	v_mul_f16_e32 v81, 0x3bf7, v53
	v_fmamk_f16 v77, v50, 0xbbdd, v75
	v_fma_f16 v75, v50, 0xbbdd, -v75
	v_mul_f16_e32 v74, 0x3bf7, v52
	v_fmac_f16_e32 v73, 0xbbdd, v51
	v_add_f16_e32 v82, v82, v86
	v_add_f16_e32 v77, v77, v80
	v_fmamk_f16 v80, v50, 0x2de8, v81
	v_add_f16_e32 v64, v75, v64
	v_fma_f16 v84, v51, 0x2de8, -v74
	v_add_f16_e32 v73, v73, v76
	v_fmac_f16_e32 v74, 0x2de8, v51
	v_add_f16_e32 v75, v80, v78
	v_mul_f16_e32 v80, 0xb5c8, v53
	v_pack_b32_f16 v53, v53, v51
	v_mul_f16_e32 v76, 0xb5c8, v52
	v_fma_f16 v78, v50, 0x2de8, -v81
	v_pack_b32_f16 v52, v50, v52
	v_fmamk_f16 v81, v50, 0x3b76, v80
	v_pk_mul_f16 v53, 0xb8d2ba62, v53
	v_add_f16_e32 v65, v74, v65
	v_fma_f16 v74, v51, 0x3b76, -v76
	v_fmac_f16_e32 v76, 0x3b76, v51
	v_add_f16_e32 v51, v81, v55
	v_fma_f16 v50, v50, 0x3b76, -v80
	v_pk_fma_f16 v55, 0xba62b8d2, v52, v53 neg_lo:[0,1,0] neg_hi:[0,1,0]
	v_add_f16_e32 v23, v74, v23
	v_pk_fma_f16 v74, 0xba62b8d2, v52, v53
	v_pk_fma_f16 v52, 0xba62b8d2, v52, v53 neg_lo:[0,0,1] neg_hi:[0,0,1]
	v_mul_f16_e32 v53, 0xba62, v47
	v_add_f16_e32 v50, v50, v54
	v_pk_add_f16 v54, v55, v58
	v_mul_f16_e32 v55, 0xba62, v48
	v_pk_add_f16 v74, v74, v79
	v_fma_f16 v58, v46, 0xb8d2, -v53
	v_pk_add_f16 v26, v52, v26
	v_mul_f16_e32 v52, 0x3bb2, v47
	v_fmamk_f16 v79, v45, 0xb8d2, v55
	v_fmac_f16_e32 v53, 0xb8d2, v46
	v_add_f16_e32 v27, v58, v27
	v_fma_f16 v55, v45, 0xb8d2, -v55
	v_fma_f16 v58, v46, 0xb461, -v52
	v_add_f16_e32 v49, v79, v49
	v_mul_f16_e32 v79, 0x3bb2, v48
	v_add_f16_e32 v53, v53, v57
	v_add_f16_e32 v55, v55, v59
	;; [unrolled: 1-line block ×3, first 2 shown]
	v_mul_f16_e32 v58, 0xb5c8, v47
	v_fmamk_f16 v59, v45, 0xb461, v79
	v_fmac_f16_e32 v52, 0xb461, v46
	v_fma_f16 v61, v45, 0xb461, -v79
	v_mul_f16_e32 v79, 0xb5c8, v48
	v_fma_f16 v80, v46, 0x3b76, -v58
	v_add_f16_e32 v59, v59, v63
	v_add_f16_e32 v52, v52, v56
	;; [unrolled: 1-line block ×3, first 2 shown]
	v_fmamk_f16 v60, v45, 0x3b76, v79
	v_add_f16_e32 v61, v80, v70
	v_mul_f16_e32 v63, 0xb836, v47
	v_fmac_f16_e32 v58, 0x3b76, v46
	v_fma_f16 v70, v45, 0x3b76, -v79
	v_add_f16_e32 v60, v60, v66
	v_mul_f16_e32 v66, 0xb836, v48
	v_fma_f16 v79, v46, 0xbacd, -v63
	v_add_f16_e32 v58, v58, v62
	v_add_f16_e32 v62, v70, v71
	v_mul_f16_e32 v70, 0x3bf7, v47
	v_fmamk_f16 v71, v45, 0xbacd, v66
	v_add_f16_e32 v25, v79, v25
	v_fmac_f16_e32 v63, 0xbacd, v46
	v_fma_f16 v66, v45, 0xbacd, -v66
	v_fma_f16 v79, v46, 0x2de8, -v70
	v_add_f16_e32 v68, v71, v68
	v_mul_f16_e32 v71, 0x3bf7, v48
	v_add_f16_e32 v63, v63, v72
	v_add_f16_e32 v66, v66, v67
	;; [unrolled: 1-line block ×3, first 2 shown]
	v_mul_f16_e32 v79, 0xb964, v48
	v_fmamk_f16 v72, v45, 0x2de8, v71
	v_fma_f16 v71, v45, 0x2de8, -v71
	v_add_f16_e32 v78, v78, v83
	v_mul_f16_e32 v69, 0xb964, v47
	v_fmac_f16_e32 v70, 0x2de8, v46
	v_add_f16_e32 v72, v72, v77
	v_fmamk_f16 v77, v45, 0x39e9, v79
	v_add_f16_e32 v64, v71, v64
	v_fma_f16 v80, v46, 0x39e9, -v69
	v_add_f16_e32 v70, v70, v73
	v_fmac_f16_e32 v69, 0x39e9, v46
	v_add_f16_e32 v71, v77, v75
	v_fma_f16 v75, v45, 0x39e9, -v79
	v_mul_f16_e32 v77, 0xb1e1, v48
	v_pack_b32_f16 v48, v48, v46
	v_mul_f16_e32 v73, 0xb1e1, v47
	v_pack_b32_f16 v47, v45, v47
	v_add_f16_e32 v75, v75, v78
	v_fmamk_f16 v78, v45, 0xbbdd, v77
	v_pk_mul_f16 v48, 0x37223b29, v48
	v_add_f16_e32 v65, v69, v65
	v_fma_f16 v69, v46, 0xbbdd, -v73
	v_fmac_f16_e32 v73, 0xbbdd, v46
	v_add_f16_e32 v46, v78, v51
	v_fma_f16 v45, v45, 0xbbdd, -v77
	v_pk_fma_f16 v51, 0x3b293722, v47, v48 neg_lo:[0,1,0] neg_hi:[0,1,0]
	v_add_f16_e32 v23, v69, v23
	v_pk_fma_f16 v69, 0x3b293722, v47, v48
	v_pk_fma_f16 v47, 0x3b293722, v47, v48 neg_lo:[0,0,1] neg_hi:[0,0,1]
	v_mul_f16_e32 v48, 0xb836, v43
	v_add_f16_e32 v45, v45, v50
	v_pk_add_f16 v50, v51, v54
	v_mul_f16_e32 v51, 0xb836, v44
	v_pk_add_f16 v69, v69, v74
	v_fma_f16 v54, v42, 0xbacd, -v48
	v_pk_add_f16 v26, v47, v26
	v_mul_f16_e32 v47, 0x3b29, v43
	v_fmamk_f16 v74, v41, 0xbacd, v51
	v_fmac_f16_e32 v48, 0xbacd, v42
	v_add_f16_e32 v27, v54, v27
	v_fma_f16 v51, v41, 0xbacd, -v51
	v_fma_f16 v54, v42, 0x3722, -v47
	v_add_f16_e32 v49, v74, v49
	v_mul_f16_e32 v74, 0x3b29, v44
	v_add_f16_e32 v76, v76, v82
	v_add_f16_e32 v48, v48, v53
	;; [unrolled: 1-line block ×4, first 2 shown]
	v_mul_f16_e32 v54, 0xbbf7, v43
	v_fmamk_f16 v55, v41, 0x3722, v74
	v_fmac_f16_e32 v47, 0x3722, v42
	v_fma_f16 v57, v41, 0x3722, -v74
	v_mul_f16_e32 v74, 0xbbf7, v44
	v_add_f16_e32 v73, v73, v76
	v_fma_f16 v76, v42, 0x2de8, -v54
	v_add_f16_e32 v47, v47, v52
	v_add_f16_e32 v52, v57, v56
	v_fmamk_f16 v56, v41, 0x2de8, v74
	v_add_f16_e32 v55, v55, v59
	v_add_f16_e32 v57, v76, v61
	v_mul_f16_e32 v59, 0x3a62, v43
	v_fmac_f16_e32 v54, 0x2de8, v42
	v_fma_f16 v61, v41, 0x2de8, -v74
	v_add_f16_e32 v56, v56, v60
	v_mul_f16_e32 v60, 0x3a62, v44
	v_fma_f16 v74, v42, 0xb8d2, -v59
	v_add_f16_e32 v54, v54, v58
	v_add_f16_e32 v58, v61, v62
	v_mul_f16_e32 v61, 0xb5c8, v43
	v_fmamk_f16 v62, v41, 0xb8d2, v60
	v_add_f16_e32 v25, v74, v25
	v_fmac_f16_e32 v59, 0xb8d2, v42
	v_fma_f16 v60, v41, 0xb8d2, -v60
	v_fma_f16 v74, v42, 0x3b76, -v61
	v_add_f16_e32 v62, v62, v68
	v_mul_f16_e32 v68, 0xb5c8, v44
	v_add_f16_e32 v59, v59, v63
	v_add_f16_e32 v60, v60, v66
	;; [unrolled: 1-line block ×3, first 2 shown]
	v_mul_f16_e32 v74, 0xb1e1, v44
	v_fmamk_f16 v67, v41, 0x3b76, v68
	v_mul_f16_e32 v66, 0xb1e1, v43
	v_fmac_f16_e32 v61, 0x3b76, v42
	v_fma_f16 v68, v41, 0x3b76, -v68
	v_add_f16_e32 v24, v88, v24
	v_add_f16_e32 v67, v67, v72
	v_fmamk_f16 v72, v41, 0xbbdd, v74
	v_fma_f16 v76, v42, 0xbbdd, -v66
	v_add_f16_e32 v61, v61, v70
	v_add_f16_e32 v64, v68, v64
	v_fmac_f16_e32 v66, 0xbbdd, v42
	v_add_f16_e32 v68, v72, v71
	v_mul_f16_e32 v70, 0x3964, v43
	v_mul_f16_e32 v72, 0x3964, v44
	v_pack_b32_f16 v44, v44, v42
	v_fma_f16 v71, v41, 0xbbdd, -v74
	v_add_f16_e32 v65, v66, v65
	v_fma_f16 v66, v42, 0x39e9, -v70
	v_fmamk_f16 v74, v41, 0x39e9, v72
	v_pack_b32_f16 v43, v41, v43
	v_pk_mul_f16 v44, 0xb461bbb2, v44
	v_fmac_f16_e32 v70, 0x39e9, v42
	v_add_f16_e32 v23, v66, v23
	v_add_f16_e32 v42, v74, v46
	v_fma_f16 v41, v41, 0x39e9, -v72
	v_pk_fma_f16 v46, 0xbbb2b461, v43, v44 neg_lo:[0,1,0] neg_hi:[0,1,0]
	v_pk_fma_f16 v66, 0xbbb2b461, v43, v44
	v_mul_f16_e32 v72, 0xb1e1, v39
	v_pk_fma_f16 v43, 0xbbb2b461, v43, v44 neg_lo:[0,0,1] neg_hi:[0,0,1]
	v_add_f16_e32 v41, v41, v45
	v_pk_add_f16 v45, v46, v50
	v_mul_f16_e32 v50, 0xb1e1, v40
	v_fma_f16 v46, v37, 0xbbdd, -v72
	v_pk_add_f16 v26, v43, v26
	v_mul_f16_e32 v43, 0x35c8, v39
	v_add_f16_e32 v44, v70, v73
	v_pk_add_f16 v66, v66, v69
	v_add_f16_e32 v27, v46, v27
	v_fmamk_f16 v46, v38, 0xbbdd, v50
	v_fma_f16 v50, v38, 0xbbdd, -v50
	v_fma_f16 v69, v37, 0x3b76, -v43
	v_mul_f16_e32 v70, 0x35c8, v40
	v_fmac_f16_e32 v43, 0x3b76, v37
	v_add_f16_e32 v46, v46, v49
	v_add_f16_e32 v49, v50, v51
	;; [unrolled: 1-line block ×3, first 2 shown]
	v_fmamk_f16 v51, v38, 0x3b76, v70
	v_mul_f16_e32 v53, 0xb836, v39
	v_fma_f16 v69, v38, 0x3b76, -v70
	v_mul_f16_e32 v70, 0xb836, v40
	v_add_f16_e32 v43, v43, v47
	v_add_f16_e32 v51, v51, v55
	v_fma_f16 v55, v37, 0xbacd, -v53
	v_add_f16_e32 v47, v69, v52
	v_fmamk_f16 v52, v38, 0xbacd, v70
	v_mul_f16_e32 v69, 0x3964, v39
	v_fmac_f16_e32 v53, 0xbacd, v37
	v_add_f16_e32 v55, v55, v57
	v_fma_f16 v57, v38, 0xbacd, -v70
	v_fmac_f16_e32 v72, 0xbbdd, v37
	v_add_f16_e32 v52, v52, v56
	v_fma_f16 v56, v37, 0x39e9, -v69
	v_mul_f16_e32 v70, 0x3964, v40
	v_add_f16_e32 v53, v53, v54
	v_add_f16_e32 v54, v57, v58
	v_mul_f16_e32 v57, 0xba62, v39
	v_add_f16_e32 v24, v84, v24
	v_add_f16_e32 v48, v72, v48
	;; [unrolled: 1-line block ×3, first 2 shown]
	v_fmamk_f16 v56, v38, 0x39e9, v70
	v_fma_f16 v58, v38, 0x39e9, -v70
	v_fma_f16 v70, v37, 0xb8d2, -v57
	v_mul_f16_e32 v72, 0xba62, v40
	v_add_f16_e32 v24, v80, v24
	v_fmac_f16_e32 v69, 0x39e9, v37
	v_add_f16_e32 v56, v56, v62
	v_add_f16_e32 v58, v58, v60
	;; [unrolled: 1-line block ×3, first 2 shown]
	v_fmamk_f16 v62, v38, 0xb8d2, v72
	v_mul_f16_e32 v63, 0x3b29, v39
	v_add_f16_e32 v24, v76, v24
	v_add_f16_e32 v59, v69, v59
	v_fmac_f16_e32 v57, 0xb8d2, v37
	v_mul_f16_e32 v69, 0x3b29, v40
	v_add_f16_e32 v62, v62, v67
	v_fma_f16 v67, v37, 0x3722, -v63
	v_fmac_f16_e32 v63, 0x3722, v37
	v_add_f16_e32 v57, v57, v61
	v_fmamk_f16 v61, v38, 0x3722, v69
	v_fma_f16 v70, v38, 0xb8d2, -v72
	v_add_f16_e32 v24, v67, v24
	v_mul_f16_e32 v67, 0xbbb2, v39
	v_add_f16_e32 v63, v63, v65
	v_pack_b32_f16 v65, v40, v37
	v_add_f16_e32 v61, v61, v68
	v_fma_f16 v68, v38, 0x3722, -v69
	v_fma_f16 v69, v37, 0xb461, -v67
	v_mul_f16_e32 v40, 0xbbb2, v40
	v_pack_b32_f16 v39, v38, v39
	v_pk_mul_f16 v65, 0x2de83bf7, v65
	v_fmac_f16_e32 v67, 0xb461, v37
	v_add_f16_e32 v23, v69, v23
	v_fmamk_f16 v69, v38, 0xb461, v40
	v_fma_f16 v37, v38, 0xb461, -v40
	v_pk_fma_f16 v38, 0x3bf72de8, v39, v65 neg_lo:[0,1,0] neg_hi:[0,1,0]
	v_pk_fma_f16 v40, 0x3bf72de8, v39, v65
	v_pk_fma_f16 v39, 0x3bf72de8, v39, v65 neg_lo:[0,0,1] neg_hi:[0,0,1]
	v_add_f16_e32 v71, v71, v75
	v_add_f16_e32 v42, v69, v42
	;; [unrolled: 1-line block ×3, first 2 shown]
	v_pk_add_f16 v38, v38, v45
	v_pk_add_f16 v40, v40, v66
	v_pack_b32_f16 v41, v50, v51
	v_pack_b32_f16 v27, v27, v46
	v_pk_add_f16 v26, v39, v26
	v_add_f16_e32 v68, v68, v71
	v_add_f16_e32 v44, v67, v44
	v_pack_b32_f16 v25, v25, v56
	v_pack_b32_f16 v45, v55, v52
	v_add_f16_e32 v64, v70, v64
	v_pack_b32_f16 v24, v24, v61
	v_pack_b32_f16 v46, v60, v62
	;; [unrolled: 1-line block ×3, first 2 shown]
	ds_write2_b32 v29, v27, v41 offset0:1 offset1:2
	ds_write2_b32 v29, v45, v25 offset0:3 offset1:4
	;; [unrolled: 1-line block ×3, first 2 shown]
	ds_write2_b32 v29, v22, v23 offset1:7
	v_alignbit_b32 v22, v26, v40, 16
	v_alignbit_b32 v23, v40, v38, 16
	v_pack_b32_f16 v24, v63, v68
	v_pack_b32_f16 v25, v44, v37
	;; [unrolled: 1-line block ×7, first 2 shown]
	ds_write2_b32 v29, v23, v22 offset0:8 offset1:9
	ds_write2_b32 v29, v25, v24 offset0:10 offset1:11
	;; [unrolled: 1-line block ×4, first 2 shown]
	ds_write_b32 v29, v39 offset:64
	s_waitcnt lgkmcnt(0)
	s_barrier
	buffer_gl0_inv
	s_clause 0x3
	global_load_dwordx4 v[22:25], v21, s[6:7] offset:80
	global_load_dwordx4 v[37:40], v21, s[6:7] offset:96
	;; [unrolled: 1-line block ×3, first 2 shown]
	global_load_dwordx2 v[26:27], v21, s[6:7] offset:128
	ds_read2_b32 v[45:46], v29 offset1:1
	ds_read2_b32 v[47:48], v29 offset0:2 offset1:3
	ds_read2_b32 v[49:50], v29 offset0:4 offset1:5
	;; [unrolled: 1-line block ×3, first 2 shown]
	v_mov_b32_e32 v85, 0x3836
	v_mov_b32_e32 v87, 0x3bb2
	s_waitcnt lgkmcnt(3)
	v_lshrrev_b32_e32 v21, 16, v45
	v_lshrrev_b32_e32 v53, 16, v46
	v_mul_f16_sdwa v56, v46, v6 dst_sel:DWORD dst_unused:UNUSED_PAD src0_sel:DWORD src1_sel:WORD_1
	v_mul_f16_sdwa v57, v45, v5 dst_sel:DWORD dst_unused:UNUSED_PAD src0_sel:DWORD src1_sel:WORD_1
	;; [unrolled: 1-line block ×4, first 2 shown]
	v_fmac_f16_e32 v56, v53, v6
	v_fmac_f16_e32 v57, v21, v5
	v_fma_f16 v45, v45, v5, -v54
	v_fma_f16 v46, v46, v6, -v55
	s_waitcnt lgkmcnt(2)
	v_lshrrev_b32_e32 v5, 16, v48
	v_pack_b32_f16 v21, v45, v57
	v_pack_b32_f16 v6, v46, v56
	v_lshrrev_b32_e32 v45, 16, v47
	ds_write2_b32 v29, v21, v6 offset1:1
	v_mul_f16_sdwa v6, v45, v7 dst_sel:DWORD dst_unused:UNUSED_PAD src0_sel:DWORD src1_sel:WORD_1
	v_mul_f16_sdwa v21, v47, v7 dst_sel:DWORD dst_unused:UNUSED_PAD src0_sel:DWORD src1_sel:WORD_1
	v_fmac_f16_e32 v21, v45, v7
	s_waitcnt vmcnt(3)
	v_mul_f16_sdwa v46, v5, v22 dst_sel:DWORD dst_unused:UNUSED_PAD src0_sel:DWORD src1_sel:WORD_1
	v_mul_f16_sdwa v53, v48, v22 dst_sel:DWORD dst_unused:UNUSED_PAD src0_sel:DWORD src1_sel:WORD_1
	s_waitcnt lgkmcnt(1)
	v_mul_f16_sdwa v54, v51, v25 dst_sel:DWORD dst_unused:UNUSED_PAD src0_sel:DWORD src1_sel:WORD_1
	v_fma_f16 v46, v48, v22, -v46
	v_fmac_f16_e32 v53, v5, v22
	v_lshrrev_b32_e32 v22, 16, v49
	v_lshrrev_b32_e32 v48, 16, v50
	v_fma_f16 v5, v47, v7, -v6
	v_pack_b32_f16 v7, v46, v53
	v_mul_f16_sdwa v6, v22, v23 dst_sel:DWORD dst_unused:UNUSED_PAD src0_sel:DWORD src1_sel:WORD_1
	v_mul_f16_sdwa v45, v48, v24 dst_sel:DWORD dst_unused:UNUSED_PAD src0_sel:DWORD src1_sel:WORD_1
	v_mul_f16_sdwa v46, v50, v24 dst_sel:DWORD dst_unused:UNUSED_PAD src0_sel:DWORD src1_sel:WORD_1
	v_pack_b32_f16 v47, v5, v21
	v_mul_f16_sdwa v53, v49, v23 dst_sel:DWORD dst_unused:UNUSED_PAD src0_sel:DWORD src1_sel:WORD_1
	v_fma_f16 v49, v49, v23, -v6
	ds_read2_b32 v[5:6], v29 offset0:8 offset1:9
	v_fma_f16 v45, v50, v24, -v45
	v_lshrrev_b32_e32 v21, 16, v52
	v_fmac_f16_e32 v46, v48, v24
	s_waitcnt vmcnt(2)
	v_mul_f16_sdwa v24, v52, v37 dst_sel:DWORD dst_unused:UNUSED_PAD src0_sel:DWORD src1_sel:WORD_1
	v_lshrrev_b32_e32 v50, 16, v51
	v_fmac_f16_e32 v53, v22, v23
	v_mul_f16_sdwa v23, v21, v37 dst_sel:DWORD dst_unused:UNUSED_PAD src0_sel:DWORD src1_sel:WORD_1
	v_fmac_f16_e32 v24, v21, v37
	ds_read2_b32 v[21:22], v29 offset0:10 offset1:11
	v_mul_f16_sdwa v48, v50, v25 dst_sel:DWORD dst_unused:UNUSED_PAD src0_sel:DWORD src1_sel:WORD_1
	v_fma_f16 v23, v52, v37, -v23
	v_fmac_f16_e32 v54, v50, v25
	v_pack_b32_f16 v37, v45, v46
	v_pack_b32_f16 v49, v49, v53
	v_fma_f16 v48, v51, v25, -v48
	v_pack_b32_f16 v25, v23, v24
	ds_read2_b32 v[23:24], v29 offset0:12 offset1:13
	ds_read2_b32 v[45:46], v29 offset0:14 offset1:15
	ds_write2_b32 v29, v47, v7 offset0:2 offset1:3
	s_waitcnt lgkmcnt(4)
	v_lshrrev_b32_e32 v50, 16, v6
	v_pack_b32_f16 v48, v48, v54
	ds_write2_b32 v29, v49, v37 offset0:4 offset1:5
	v_lshrrev_b32_e32 v7, 16, v5
	v_mul_f16_sdwa v37, v50, v39 dst_sel:DWORD dst_unused:UNUSED_PAD src0_sel:DWORD src1_sel:WORD_1
	ds_write2_b32 v29, v48, v25 offset0:6 offset1:7
	v_mul_f16_sdwa v25, v6, v39 dst_sel:DWORD dst_unused:UNUSED_PAD src0_sel:DWORD src1_sel:WORD_1
	v_mul_f16_sdwa v48, v5, v38 dst_sel:DWORD dst_unused:UNUSED_PAD src0_sel:DWORD src1_sel:WORD_1
	;; [unrolled: 1-line block ×3, first 2 shown]
	v_fma_f16 v6, v6, v39, -v37
	s_waitcnt lgkmcnt(5)
	v_lshrrev_b32_e32 v37, 16, v22
	v_fmac_f16_e32 v25, v50, v39
	v_fmac_f16_e32 v48, v7, v38
	v_lshrrev_b32_e32 v39, 16, v21
	v_fma_f16 v5, v5, v38, -v47
	s_waitcnt vmcnt(1)
	v_mul_f16_sdwa v7, v37, v41 dst_sel:DWORD dst_unused:UNUSED_PAD src0_sel:DWORD src1_sel:WORD_1
	v_pack_b32_f16 v6, v6, v25
	v_mul_f16_sdwa v25, v22, v41 dst_sel:DWORD dst_unused:UNUSED_PAD src0_sel:DWORD src1_sel:WORD_1
	v_mul_f16_sdwa v38, v39, v40 dst_sel:DWORD dst_unused:UNUSED_PAD src0_sel:DWORD src1_sel:WORD_1
	;; [unrolled: 1-line block ×3, first 2 shown]
	v_fma_f16 v7, v22, v41, -v7
	ds_read_b32 v22, v29 offset:64
	v_fmac_f16_e32 v25, v37, v41
	s_waitcnt lgkmcnt(5)
	v_lshrrev_b32_e32 v37, 16, v23
	v_fma_f16 v21, v21, v40, -v38
	v_fmac_f16_e32 v47, v39, v40
	v_mul_f16_sdwa v39, v23, v42 dst_sel:DWORD dst_unused:UNUSED_PAD src0_sel:DWORD src1_sel:WORD_1
	v_pack_b32_f16 v7, v7, v25
	v_lshrrev_b32_e32 v25, 16, v24
	v_mul_f16_sdwa v38, v37, v42 dst_sel:DWORD dst_unused:UNUSED_PAD src0_sel:DWORD src1_sel:WORD_1
	s_waitcnt lgkmcnt(4)
	v_lshrrev_b32_e32 v40, 16, v45
	v_fmac_f16_e32 v39, v37, v42
	v_pack_b32_f16 v5, v5, v48
	v_mul_f16_sdwa v41, v25, v43 dst_sel:DWORD dst_unused:UNUSED_PAD src0_sel:DWORD src1_sel:WORD_1
	v_fma_f16 v23, v23, v42, -v38
	v_mul_f16_sdwa v38, v24, v43 dst_sel:DWORD dst_unused:UNUSED_PAD src0_sel:DWORD src1_sel:WORD_1
	v_mul_f16_sdwa v37, v40, v44 dst_sel:DWORD dst_unused:UNUSED_PAD src0_sel:DWORD src1_sel:WORD_1
	;; [unrolled: 1-line block ×3, first 2 shown]
	v_fma_f16 v24, v24, v43, -v41
	v_lshrrev_b32_e32 v41, 16, v46
	v_fmac_f16_e32 v38, v25, v43
	s_waitcnt lgkmcnt(0)
	v_lshrrev_b32_e32 v25, 16, v22
	v_fma_f16 v37, v45, v44, -v37
	s_waitcnt vmcnt(0)
	v_mul_f16_sdwa v45, v46, v26 dst_sel:DWORD dst_unused:UNUSED_PAD src0_sel:DWORD src1_sel:WORD_1
	v_mul_f16_sdwa v43, v41, v26 dst_sel:DWORD dst_unused:UNUSED_PAD src0_sel:DWORD src1_sel:WORD_1
	v_pack_b32_f16 v21, v21, v47
	v_mul_f16_sdwa v47, v25, v27 dst_sel:DWORD dst_unused:UNUSED_PAD src0_sel:DWORD src1_sel:WORD_1
	v_mul_f16_sdwa v48, v22, v27 dst_sel:DWORD dst_unused:UNUSED_PAD src0_sel:DWORD src1_sel:WORD_1
	v_fmac_f16_e32 v42, v40, v44
	v_fma_f16 v40, v46, v26, -v43
	v_fmac_f16_e32 v45, v41, v26
	v_fma_f16 v22, v22, v27, -v47
	v_fmac_f16_e32 v48, v25, v27
	v_pack_b32_f16 v24, v24, v38
	v_pack_b32_f16 v23, v23, v39
	;; [unrolled: 1-line block ×5, first 2 shown]
	ds_write2_b32 v29, v5, v6 offset0:8 offset1:9
	ds_write2_b32 v29, v21, v7 offset0:10 offset1:11
	;; [unrolled: 1-line block ×4, first 2 shown]
	ds_write_b32 v29, v22 offset:64
	s_waitcnt lgkmcnt(0)
	s_barrier
	buffer_gl0_inv
	ds_read2_b32 v[23:24], v29 offset0:1 offset1:2
	ds_read_b32 v7, v29 offset:64
	ds_read2_b32 v[39:40], v29 offset0:3 offset1:4
	ds_read2_b32 v[59:60], v29 offset0:5 offset1:6
	;; [unrolled: 1-line block ×3, first 2 shown]
	ds_read2_b32 v[21:22], v29 offset1:7
	ds_read2_b32 v[46:47], v29 offset0:14 offset1:15
	ds_read2_b32 v[61:62], v29 offset0:10 offset1:11
	s_waitcnt lgkmcnt(7)
	v_alignbit_b32 v25, v23, v23, 16
	s_waitcnt lgkmcnt(2)
	v_add_f16_e32 v49, v23, v21
	v_pk_add_f16 v26, v7, v25 op_sel:[1,0] op_sel_hi:[0,1]
	v_pk_add_f16 v37, v25, v7 op_sel:[0,1] op_sel_hi:[1,0] neg_lo:[0,1] neg_hi:[0,1]
	v_add_f16_sdwa v23, v23, v21 dst_sel:DWORD dst_unused:UNUSED_PAD src0_sel:WORD_1 src1_sel:WORD_1
	v_add_f16_e32 v53, v49, v24
	v_lshrrev_b32_e32 v41, 16, v26
	v_mul_f16_e32 v44, 0xb964, v37
	v_add_f16_sdwa v23, v23, v24 dst_sel:DWORD dst_unused:UNUSED_PAD src0_sel:DWORD src1_sel:WORD_1
	v_mul_f16_e32 v45, 0xbb29, v37
	v_mul_f16_e32 v50, 0xbbf7, v37
	v_mul_f16_e32 v38, 0xb5c8, v37
	v_fmamk_f16 v43, v41, 0x39e9, v44
	v_fma_f16 v51, v41, 0x39e9, -v44
	v_add_f16_e32 v44, v53, v39
	v_add_f16_sdwa v23, v23, v39 dst_sel:DWORD dst_unused:UNUSED_PAD src0_sel:DWORD src1_sel:WORD_1
	v_fmamk_f16 v52, v41, 0x3722, v45
	v_fma_f16 v49, v41, 0x3722, -v45
	v_mul_f16_e32 v45, 0xbbb2, v37
	v_add_f16_e32 v44, v44, v40
	v_add_f16_sdwa v23, v23, v40 dst_sel:DWORD dst_unused:UNUSED_PAD src0_sel:DWORD src1_sel:WORD_1
	v_fmamk_f16 v53, v41, 0x2de8, v50
	v_mul_f16_e32 v55, 0xba62, v37
	v_fma_f16 v54, v41, 0x2de8, -v50
	v_add_f16_e32 v44, v44, v59
	v_add_f16_sdwa v23, v23, v59 dst_sel:DWORD dst_unused:UNUSED_PAD src0_sel:DWORD src1_sel:WORD_1
	v_mul_f16_e32 v50, 0xb836, v37
	v_fmamk_f16 v27, v41, 0x3b76, v38
	v_fma_f16 v38, v41, 0x3b76, -v38
	v_add_f16_e32 v63, v44, v60
	v_add_f16_sdwa v23, v23, v60 dst_sel:DWORD dst_unused:UNUSED_PAD src0_sel:DWORD src1_sel:WORD_1
	v_fmamk_f16 v56, v41, 0xb461, v45
	v_fma_f16 v57, v41, 0xb461, -v45
	v_fmamk_f16 v58, v41, 0xb8d2, v55
	v_fma_f16 v55, v41, 0xb8d2, -v55
	;; [unrolled: 2-line block ×3, first 2 shown]
	v_add_f16_e32 v41, v63, v22
	ds_read2_b32 v[63:64], v29 offset0:12 offset1:13
	v_add_f16_sdwa v23, v23, v22 dst_sel:DWORD dst_unused:UNUSED_PAD src0_sel:DWORD src1_sel:WORD_1
	v_mul_f16_e32 v25, 0x3b76, v26
	v_lshrrev_b32_e32 v48, 16, v37
	v_add_f16_e32 v41, v41, v5
	v_mul_f16_e32 v42, 0x39e9, v26
	v_add_f16_sdwa v23, v23, v5 dst_sel:DWORD dst_unused:UNUSED_PAD src0_sel:DWORD src1_sel:WORD_1
	v_mul_f16_e32 v67, 0x3722, v26
	v_mul_f16_e32 v68, 0x2de8, v26
	v_add_f16_e32 v41, v41, v6
	v_mul_f16_e32 v71, 0xb461, v26
	v_add_f16_sdwa v23, v23, v6 dst_sel:DWORD dst_unused:UNUSED_PAD src0_sel:DWORD src1_sel:WORD_1
	v_mul_f16_e32 v72, 0xb8d2, v26
	v_mul_f16_e32 v75, 0xbacd, v26
	s_waitcnt lgkmcnt(1)
	v_add_f16_e32 v41, v41, v61
	v_pk_mul_f16 v37, 0xb1e1, v37 op_sel_hi:[0,1]
	v_add_f16_sdwa v23, v23, v61 dst_sel:DWORD dst_unused:UNUSED_PAD src0_sel:DWORD src1_sel:WORD_1
	v_fmamk_f16 v65, v48, 0x35c8, v25
	v_fmac_f16_e32 v25, 0xb5c8, v48
	v_add_f16_e32 v41, v41, v62
	v_fmamk_f16 v66, v48, 0x3964, v42
	v_add_f16_sdwa v23, v23, v62 dst_sel:DWORD dst_unused:UNUSED_PAD src0_sel:DWORD src1_sel:WORD_1
	v_fmac_f16_e32 v42, 0xb964, v48
	v_fmamk_f16 v69, v48, 0x3b29, v67
	s_waitcnt lgkmcnt(0)
	v_add_f16_e32 v41, v41, v63
	v_fmac_f16_e32 v67, 0xbb29, v48
	v_add_f16_sdwa v23, v23, v63 dst_sel:DWORD dst_unused:UNUSED_PAD src0_sel:DWORD src1_sel:WORD_1
	v_fmamk_f16 v70, v48, 0x3bf7, v68
	v_fmac_f16_e32 v68, 0xbbf7, v48
	v_add_f16_e32 v41, v41, v64
	v_fmamk_f16 v73, v48, 0x3bb2, v71
	v_add_f16_sdwa v23, v23, v64 dst_sel:DWORD dst_unused:UNUSED_PAD src0_sel:DWORD src1_sel:WORD_1
	v_fmac_f16_e32 v71, 0xbbb2, v48
	v_fmamk_f16 v74, v48, 0x3a62, v72
	v_add_f16_e32 v41, v41, v46
	v_fmac_f16_e32 v72, 0xba62, v48
	v_add_f16_sdwa v23, v23, v46 dst_sel:DWORD dst_unused:UNUSED_PAD src0_sel:DWORD src1_sel:WORD_1
	v_fmamk_f16 v76, v48, 0x3836, v75
	v_fmac_f16_e32 v75, 0xb836, v48
	v_pk_fma_f16 v77, 0xbbdd, v26, v37 op_sel:[0,0,1] op_sel_hi:[0,1,0]
	v_pk_fma_f16 v78, 0xbbdd, v26, v37 op_sel:[0,0,1] op_sel_hi:[0,1,0] neg_lo:[0,0,1] neg_hi:[0,0,1]
	v_pk_add_f16 v50, v47, v24
	v_pk_add_f16 v48, v24, v47 neg_lo:[0,1] neg_hi:[0,1]
	v_add_f16_e32 v79, v41, v47
	v_add_f16_sdwa v80, v23, v47 dst_sel:DWORD dst_unused:UNUSED_PAD src0_sel:DWORD src1_sel:WORD_1
	v_pk_add_f16 v47, v46, v39
	v_pk_add_f16 v46, v39, v46 neg_lo:[0,1] neg_hi:[0,1]
	v_pk_add_f16 v41, v64, v40
	v_pk_add_f16 v40, v40, v64 neg_lo:[0,1] neg_hi:[0,1]
	;; [unrolled: 2-line block ×3, first 2 shown]
	v_add_f16_e32 v59, v27, v21
	v_add_f16_e32 v64, v49, v21
	v_mov_b32_e32 v49, 0xb964
	v_mov_b32_e32 v27, 0x39e9
	v_pk_add_f16 v26, v62, v60
	v_pk_add_f16 v24, v60, v62 neg_lo:[0,1] neg_hi:[0,1]
	v_add_f16_sdwa v62, v66, v21 dst_sel:DWORD dst_unused:UNUSED_PAD src0_sel:DWORD src1_sel:WORD_1
	v_add_f16_sdwa v63, v69, v21 dst_sel:DWORD dst_unused:UNUSED_PAD src0_sel:DWORD src1_sel:WORD_1
	;; [unrolled: 1-line block ×6, first 2 shown]
	v_add_f16_e32 v72, v45, v21
	v_add_f16_e32 v74, v44, v21
	v_mul_f16_sdwa v45, v48, v49 dst_sel:DWORD dst_unused:UNUSED_PAD src0_sel:WORD_1 src1_sel:DWORD
	v_add_f16_e32 v44, v79, v7
	v_add_f16_sdwa v7, v80, v7 dst_sel:WORD_1 dst_unused:UNUSED_PAD src0_sel:DWORD src1_sel:WORD_1
	v_mul_f16_sdwa v79, v50, v27 dst_sel:DWORD dst_unused:UNUSED_PAD src0_sel:WORD_1 src1_sel:DWORD
	v_pk_add_f16 v23, v61, v22
	v_pk_add_f16 v22, v22, v61 neg_lo:[0,1] neg_hi:[0,1]
	v_add_f16_sdwa v60, v65, v21 dst_sel:DWORD dst_unused:UNUSED_PAD src0_sel:DWORD src1_sel:WORD_1
	v_add_f16_e32 v38, v38, v21
	v_add_f16_sdwa v25, v25, v21 dst_sel:DWORD dst_unused:UNUSED_PAD src0_sel:DWORD src1_sel:WORD_1
	v_add_f16_e32 v61, v43, v21
	v_add_f16_e32 v51, v51, v21
	v_add_f16_sdwa v42, v42, v21 dst_sel:DWORD dst_unused:UNUSED_PAD src0_sel:DWORD src1_sel:WORD_1
	v_add_f16_e32 v52, v52, v21
	v_add_f16_sdwa v65, v67, v21 dst_sel:DWORD dst_unused:UNUSED_PAD src0_sel:DWORD src1_sel:WORD_1
	v_add_f16_e32 v53, v53, v21
	v_add_f16_e32 v54, v54, v21
	;; [unrolled: 5-line block ×3, first 2 shown]
	v_add_f16_e32 v55, v55, v21
	v_add_f16_sdwa v73, v76, v21 dst_sel:DWORD dst_unused:UNUSED_PAD src0_sel:DWORD src1_sel:WORD_1
	v_add_f16_sdwa v75, v75, v21 dst_sel:DWORD dst_unused:UNUSED_PAD src0_sel:DWORD src1_sel:WORD_1
	v_pk_add_f16 v76, v77, v21 op_sel:[0,1] op_sel_hi:[1,0]
	v_fmamk_f16 v77, v50, 0x39e9, v45
	v_mov_b32_e32 v43, 0xbbf7
	v_pk_add_f16 v78, v78, v21 op_sel:[0,1] op_sel_hi:[1,0]
	v_or_b32_sdwa v7, v7, v44 dst_sel:DWORD dst_unused:UNUSED_PAD src0_sel:DWORD src1_sel:WORD_0
	v_fmamk_f16 v21, v48, 0x3964, v79
	v_mov_b32_e32 v44, 0x2de8
	v_add_f16_e32 v59, v77, v59
	v_mul_f16_sdwa v77, v48, v43 dst_sel:DWORD dst_unused:UNUSED_PAD src0_sel:WORD_1 src1_sel:DWORD
	v_fma_f16 v45, v50, 0x39e9, -v45
	v_fmac_f16_e32 v79, 0xb964, v48
	v_add_f16_e32 v60, v21, v60
	v_mul_f16_sdwa v81, v50, v44 dst_sel:DWORD dst_unused:UNUSED_PAD src0_sel:WORD_1 src1_sel:DWORD
	v_mov_b32_e32 v21, 0xba62
	v_fmamk_f16 v80, v50, 0x2de8, v77
	v_add_f16_e32 v82, v45, v38
	v_add_f16_e32 v79, v79, v25
	v_fmamk_f16 v25, v48, 0x3bf7, v81
	v_mov_b32_e32 v45, 0xb8d2
	v_fma_f16 v38, v50, 0x2de8, -v77
	v_mul_f16_sdwa v77, v48, v21 dst_sel:DWORD dst_unused:UNUSED_PAD src0_sel:WORD_1 src1_sel:DWORD
	v_add_f16_e32 v61, v80, v61
	v_fmac_f16_e32 v81, 0xbbf7, v48
	v_add_f16_e32 v62, v25, v62
	v_mul_f16_sdwa v25, v50, v45 dst_sel:DWORD dst_unused:UNUSED_PAD src0_sel:WORD_1 src1_sel:DWORD
	v_add_f16_e32 v80, v38, v51
	v_fmamk_f16 v51, v50, 0xb8d2, v77
	v_mov_b32_e32 v38, 0xb1e1
	v_add_f16_e32 v81, v81, v42
	v_fmamk_f16 v83, v48, 0x3a62, v25
	v_mov_b32_e32 v42, 0xbbdd
	v_fma_f16 v77, v50, 0xb8d2, -v77
	v_add_f16_e32 v84, v51, v52
	v_mul_f16_sdwa v52, v48, v38 dst_sel:DWORD dst_unused:UNUSED_PAD src0_sel:WORD_1 src1_sel:DWORD
	v_add_f16_e32 v63, v83, v63
	v_mul_f16_sdwa v83, v50, v42 dst_sel:DWORD dst_unused:UNUSED_PAD src0_sel:WORD_1 src1_sel:DWORD
	v_add_f16_e32 v64, v77, v64
	v_fmac_f16_e32 v25, 0xba62, v48
	v_fmamk_f16 v77, v50, 0xbbdd, v52
	v_mov_b32_e32 v51, 0xbacd
	v_fmamk_f16 v86, v48, 0x31e1, v83
	v_fma_f16 v52, v50, 0xbbdd, -v52
	v_add_f16_e32 v65, v25, v65
	v_add_f16_e32 v53, v77, v53
	v_mul_f16_sdwa v25, v48, v85 dst_sel:DWORD dst_unused:UNUSED_PAD src0_sel:WORD_1 src1_sel:DWORD
	v_mul_f16_sdwa v77, v50, v51 dst_sel:DWORD dst_unused:UNUSED_PAD src0_sel:WORD_1 src1_sel:DWORD
	v_fmac_f16_e32 v83, 0xb1e1, v48
	v_add_f16_e32 v66, v86, v66
	v_add_f16_e32 v54, v52, v54
	v_fmamk_f16 v86, v50, 0xbacd, v25
	v_fmamk_f16 v88, v48, 0xb836, v77
	v_add_f16_e32 v67, v83, v67
	v_mul_f16_sdwa v52, v48, v87 dst_sel:DWORD dst_unused:UNUSED_PAD src0_sel:WORD_1 src1_sel:DWORD
	v_mov_b32_e32 v83, 0xb461
	v_add_f16_e32 v56, v86, v56
	v_add_f16_e32 v68, v88, v68
	v_fma_f16 v86, v50, 0xbacd, -v25
	v_fmamk_f16 v88, v50, 0xb461, v52
	v_mul_f16_sdwa v89, v50, v83 dst_sel:DWORD dst_unused:UNUSED_PAD src0_sel:WORD_1 src1_sel:DWORD
	v_fmac_f16_e32 v77, 0x3836, v48
	v_mov_b32_e32 v25, 0x3b29
	v_add_f16_e32 v57, v86, v57
	v_add_f16_e32 v58, v88, v58
	v_fmamk_f16 v86, v48, 0xbbb2, v89
	v_fma_f16 v88, v50, 0xb461, -v52
	v_mov_b32_e32 v52, 0x3722
	v_add_f16_e32 v69, v77, v69
	v_mul_f16_sdwa v77, v48, v25 dst_sel:DWORD dst_unused:UNUSED_PAD src0_sel:WORD_1 src1_sel:DWORD
	v_fmac_f16_e32 v89, 0x3bb2, v48
	v_add_f16_e32 v70, v86, v70
	v_mul_f16_sdwa v86, v50, v52 dst_sel:DWORD dst_unused:UNUSED_PAD src0_sel:WORD_1 src1_sel:DWORD
	v_add_f16_e32 v55, v88, v55
	v_fmamk_f16 v90, v50, 0x3722, v77
	v_add_f16_e32 v71, v89, v71
	v_pk_mul_f16 v88, 0x3b76, v50 op_sel_hi:[0,1]
	v_fma_f16 v50, v50, 0x3722, -v77
	v_mov_b32_e32 v77, 0xbb29
	v_fmamk_f16 v89, v48, 0xbb29, v86
	v_add_f16_e32 v72, v90, v72
	v_fmac_f16_e32 v86, 0x3b29, v48
	v_pk_fma_f16 v90, 0x35c8, v48, v88 op_sel:[0,0,1] op_sel_hi:[0,1,0]
	v_pk_fma_f16 v48, 0x35c8, v48, v88 op_sel:[0,0,1] op_sel_hi:[0,1,0] neg_lo:[0,1,0] neg_hi:[0,1,0]
	v_mul_f16_sdwa v88, v46, v77 dst_sel:DWORD dst_unused:UNUSED_PAD src0_sel:WORD_1 src1_sel:DWORD
	v_add_f16_e32 v73, v89, v73
	v_mul_f16_sdwa v89, v47, v52 dst_sel:DWORD dst_unused:UNUSED_PAD src0_sel:WORD_1 src1_sel:DWORD
	v_add_f16_e32 v50, v50, v74
	v_add_f16_e32 v74, v86, v75
	v_fmamk_f16 v75, v47, 0x3722, v88
	v_pk_add_f16 v78, v48, v78
	v_fmamk_f16 v86, v46, 0x3b29, v89
	v_mul_f16_sdwa v48, v46, v21 dst_sel:DWORD dst_unused:UNUSED_PAD src0_sel:WORD_1 src1_sel:DWORD
	v_fmac_f16_e32 v89, 0xbb29, v46
	v_add_f16_e32 v59, v75, v59
	v_fma_f16 v75, v47, 0x3722, -v88
	v_add_f16_e32 v60, v86, v60
	v_fmamk_f16 v86, v47, 0xb8d2, v48
	v_mov_b32_e32 v88, 0x31e1
	v_pk_add_f16 v76, v90, v76
	v_add_f16_e32 v75, v75, v82
	v_mul_f16_sdwa v82, v47, v45 dst_sel:DWORD dst_unused:UNUSED_PAD src0_sel:WORD_1 src1_sel:DWORD
	v_add_f16_e32 v61, v86, v61
	v_mul_f16_sdwa v86, v46, v88 dst_sel:DWORD dst_unused:UNUSED_PAD src0_sel:WORD_1 src1_sel:DWORD
	;; [unrolled: 2-line block ×3, first 2 shown]
	v_fmamk_f16 v89, v46, 0x3a62, v82
	v_fma_f16 v48, v47, 0xb8d2, -v48
	v_fmac_f16_e32 v82, 0xba62, v46
	v_fmamk_f16 v90, v47, 0xbbdd, v86
	v_fmamk_f16 v91, v46, 0xb1e1, v88
	v_add_f16_e32 v62, v89, v62
	v_add_f16_e32 v80, v48, v80
	;; [unrolled: 1-line block ×4, first 2 shown]
	v_mul_f16_sdwa v84, v46, v87 dst_sel:DWORD dst_unused:UNUSED_PAD src0_sel:WORD_1 src1_sel:DWORD
	v_fma_f16 v86, v47, 0xbbdd, -v86
	v_fmac_f16_e32 v88, 0x31e1, v46
	v_mul_f16_sdwa v89, v47, v83 dst_sel:DWORD dst_unused:UNUSED_PAD src0_sel:WORD_1 src1_sel:DWORD
	v_mov_b32_e32 v48, 0x3964
	v_fmamk_f16 v90, v47, 0xb461, v84
	v_add_f16_e32 v64, v86, v64
	v_add_f16_e32 v65, v88, v65
	v_fmamk_f16 v86, v46, 0xbbb2, v89
	v_mul_f16_sdwa v88, v46, v48 dst_sel:DWORD dst_unused:UNUSED_PAD src0_sel:WORD_1 src1_sel:DWORD
	v_add_f16_e32 v53, v90, v53
	v_fma_f16 v84, v47, 0xb461, -v84
	v_fmac_f16_e32 v89, 0x3bb2, v46
	v_add_f16_e32 v66, v86, v66
	v_fmamk_f16 v86, v47, 0x39e9, v88
	v_mul_f16_sdwa v90, v47, v27 dst_sel:DWORD dst_unused:UNUSED_PAD src0_sel:WORD_1 src1_sel:DWORD
	v_add_f16_e32 v54, v84, v54
	v_add_f16_e32 v67, v89, v67
	v_mov_b32_e32 v84, 0xb5c8
	v_add_f16_e32 v56, v86, v56
	v_fmamk_f16 v86, v46, 0xb964, v90
	v_mov_b32_e32 v89, 0x3b76
	v_add_f16_e32 v63, v91, v63
	v_fma_f16 v88, v47, 0x39e9, -v88
	v_mul_f16_sdwa v91, v46, v84 dst_sel:DWORD dst_unused:UNUSED_PAD src0_sel:WORD_1 src1_sel:DWORD
	v_fmac_f16_e32 v90, 0x3964, v46
	v_add_f16_e32 v68, v86, v68
	v_mul_f16_sdwa v86, v47, v89 dst_sel:DWORD dst_unused:UNUSED_PAD src0_sel:WORD_1 src1_sel:DWORD
	v_add_f16_e32 v57, v88, v57
	v_fmamk_f16 v88, v47, 0x3b76, v91
	v_add_f16_e32 v69, v90, v69
	v_mul_f16_sdwa v90, v46, v43 dst_sel:DWORD dst_unused:UNUSED_PAD src0_sel:WORD_1 src1_sel:DWORD
	v_fmamk_f16 v92, v46, 0x35c8, v86
	v_fma_f16 v91, v47, 0x3b76, -v91
	v_fmac_f16_e32 v86, 0xb5c8, v46
	v_add_f16_e32 v58, v88, v58
	v_fmamk_f16 v88, v47, 0x2de8, v90
	v_add_f16_e32 v70, v92, v70
	v_add_f16_e32 v55, v91, v55
	v_mul_f16_sdwa v91, v47, v44 dst_sel:DWORD dst_unused:UNUSED_PAD src0_sel:WORD_1 src1_sel:DWORD
	v_add_f16_e32 v71, v86, v71
	v_pk_mul_f16 v86, 0xbacd, v47 op_sel_hi:[0,1]
	v_add_f16_e32 v72, v88, v72
	v_fma_f16 v47, v47, 0x2de8, -v90
	v_fmamk_f16 v88, v46, 0x3bf7, v91
	v_fmac_f16_e32 v91, 0xbbf7, v46
	v_mul_f16_sdwa v90, v40, v43 dst_sel:DWORD dst_unused:UNUSED_PAD src0_sel:WORD_1 src1_sel:DWORD
	v_pk_fma_f16 v92, 0xb836, v46, v86 op_sel:[0,0,1] op_sel_hi:[0,1,0]
	v_pk_fma_f16 v46, 0xb836, v46, v86 op_sel:[0,0,1] op_sel_hi:[0,1,0] neg_lo:[0,1,0] neg_hi:[0,1,0]
	v_mul_f16_sdwa v86, v41, v44 dst_sel:DWORD dst_unused:UNUSED_PAD src0_sel:WORD_1 src1_sel:DWORD
	v_add_f16_e32 v73, v88, v73
	v_add_f16_e32 v47, v47, v50
	v_fmamk_f16 v50, v41, 0x2de8, v90
	v_pk_add_f16 v46, v46, v78
	v_fmamk_f16 v78, v40, 0x3bf7, v86
	v_mul_f16_sdwa v88, v41, v42 dst_sel:DWORD dst_unused:UNUSED_PAD src0_sel:WORD_1 src1_sel:DWORD
	v_fmac_f16_e32 v86, 0xbbf7, v40
	v_add_f16_e32 v50, v50, v59
	v_mul_f16_sdwa v59, v40, v38 dst_sel:DWORD dst_unused:UNUSED_PAD src0_sel:WORD_1 src1_sel:DWORD
	v_add_f16_e32 v60, v78, v60
	v_fmamk_f16 v78, v40, 0x31e1, v88
	v_add_f16_e32 v74, v91, v74
	v_fma_f16 v90, v41, 0x2de8, -v90
	v_fmamk_f16 v91, v41, 0xbbdd, v59
	v_add_f16_e32 v79, v86, v79
	v_mul_f16_sdwa v86, v40, v87 dst_sel:DWORD dst_unused:UNUSED_PAD src0_sel:WORD_1 src1_sel:DWORD
	v_add_f16_e32 v62, v78, v62
	v_fma_f16 v59, v41, 0xbbdd, -v59
	v_fmac_f16_e32 v88, 0xb1e1, v40
	v_mov_b32_e32 v78, 0x35c8
	v_add_f16_e32 v75, v90, v75
	v_add_f16_e32 v61, v91, v61
	v_fmamk_f16 v90, v41, 0xb461, v86
	v_mul_f16_sdwa v91, v41, v83 dst_sel:DWORD dst_unused:UNUSED_PAD src0_sel:WORD_1 src1_sel:DWORD
	v_add_f16_e32 v59, v59, v80
	v_add_f16_e32 v80, v88, v81
	v_mul_f16_sdwa v81, v40, v78 dst_sel:DWORD dst_unused:UNUSED_PAD src0_sel:WORD_1 src1_sel:DWORD
	v_pk_add_f16 v76, v92, v76
	v_add_f16_e32 v82, v90, v82
	v_fmamk_f16 v88, v40, 0xbbb2, v91
	v_fma_f16 v86, v41, 0xb461, -v86
	v_fmamk_f16 v90, v41, 0x3b76, v81
	v_mul_f16_sdwa v92, v41, v89 dst_sel:DWORD dst_unused:UNUSED_PAD src0_sel:WORD_1 src1_sel:DWORD
	v_fmac_f16_e32 v91, 0x3bb2, v40
	v_add_f16_e32 v63, v88, v63
	v_add_f16_e32 v64, v86, v64
	;; [unrolled: 1-line block ×3, first 2 shown]
	v_fmamk_f16 v86, v40, 0xb5c8, v92
	v_mul_f16_sdwa v88, v40, v77 dst_sel:DWORD dst_unused:UNUSED_PAD src0_sel:WORD_1 src1_sel:DWORD
	v_mul_f16_sdwa v90, v41, v52 dst_sel:DWORD dst_unused:UNUSED_PAD src0_sel:WORD_1 src1_sel:DWORD
	v_fma_f16 v81, v41, 0x3b76, -v81
	v_add_f16_e32 v65, v91, v65
	v_add_f16_e32 v66, v86, v66
	v_fmamk_f16 v86, v41, 0x3722, v88
	v_fmamk_f16 v91, v40, 0x3b29, v90
	v_add_f16_e32 v54, v81, v54
	v_mov_b32_e32 v81, 0xb836
	v_fmac_f16_e32 v90, 0xbb29, v40
	v_add_f16_e32 v56, v86, v56
	v_add_f16_e32 v68, v91, v68
	v_fma_f16 v86, v41, 0x3722, -v88
	v_mul_f16_sdwa v88, v40, v81 dst_sel:DWORD dst_unused:UNUSED_PAD src0_sel:WORD_1 src1_sel:DWORD
	v_mov_b32_e32 v91, 0x3a62
	v_fmac_f16_e32 v92, 0x35c8, v40
	v_add_f16_e32 v69, v90, v69
	v_add_f16_e32 v57, v86, v57
	v_fmamk_f16 v86, v41, 0xbacd, v88
	v_mul_f16_sdwa v90, v40, v91 dst_sel:DWORD dst_unused:UNUSED_PAD src0_sel:WORD_1 src1_sel:DWORD
	v_add_f16_e32 v67, v92, v67
	v_mul_f16_sdwa v92, v41, v51 dst_sel:DWORD dst_unused:UNUSED_PAD src0_sel:WORD_1 src1_sel:DWORD
	v_fma_f16 v88, v41, 0xbacd, -v88
	v_add_f16_e32 v58, v86, v58
	v_fmamk_f16 v86, v41, 0xb8d2, v90
	v_mul_f16_sdwa v85, v37, v85 dst_sel:DWORD dst_unused:UNUSED_PAD src0_sel:WORD_1 src1_sel:DWORD
	v_fmamk_f16 v93, v40, 0x3836, v92
	v_fmac_f16_e32 v92, 0xb836, v40
	v_add_f16_e32 v55, v88, v55
	v_mul_f16_sdwa v88, v41, v45 dst_sel:DWORD dst_unused:UNUSED_PAD src0_sel:WORD_1 src1_sel:DWORD
	v_add_f16_e32 v72, v86, v72
	v_pk_mul_f16 v86, 0x39e9, v41 op_sel_hi:[0,1]
	v_fma_f16 v41, v41, 0xb8d2, -v90
	v_mov_b32_e32 v90, 0xbbb2
	v_add_f16_e32 v70, v93, v70
	v_add_f16_e32 v71, v92, v71
	v_fmamk_f16 v92, v40, 0xba62, v88
	v_fmac_f16_e32 v88, 0x3a62, v40
	v_pk_fma_f16 v93, 0x3964, v40, v86 op_sel:[0,0,1] op_sel_hi:[0,1,0]
	v_pk_fma_f16 v40, 0x3964, v40, v86 op_sel:[0,0,1] op_sel_hi:[0,1,0] neg_lo:[0,1,0] neg_hi:[0,1,0]
	v_mul_f16_sdwa v86, v37, v90 dst_sel:DWORD dst_unused:UNUSED_PAD src0_sel:WORD_1 src1_sel:DWORD
	v_add_f16_e32 v41, v41, v47
	v_mul_f16_sdwa v47, v39, v83 dst_sel:DWORD dst_unused:UNUSED_PAD src0_sel:WORD_1 src1_sel:DWORD
	v_add_f16_e32 v74, v88, v74
	v_pk_add_f16 v40, v40, v46
	v_fmamk_f16 v88, v39, 0xb461, v86
	v_fma_f16 v86, v39, 0xb461, -v86
	v_fmamk_f16 v46, v37, 0x3bb2, v47
	v_fmac_f16_e32 v47, 0xbbb2, v37
	v_add_f16_e32 v73, v92, v73
	v_add_f16_e32 v50, v88, v50
	v_mul_f16_sdwa v88, v39, v51 dst_sel:DWORD dst_unused:UNUSED_PAD src0_sel:WORD_1 src1_sel:DWORD
	v_add_f16_e32 v46, v46, v60
	v_fmamk_f16 v60, v39, 0xbacd, v85
	v_add_f16_e32 v47, v47, v79
	v_mul_f16_sdwa v79, v37, v48 dst_sel:DWORD dst_unused:UNUSED_PAD src0_sel:WORD_1 src1_sel:DWORD
	v_add_f16_e32 v75, v86, v75
	v_fma_f16 v85, v39, 0xbacd, -v85
	v_add_f16_e32 v60, v60, v61
	v_fmamk_f16 v61, v37, 0xb836, v88
	v_fmac_f16_e32 v88, 0x3836, v37
	v_fmamk_f16 v86, v39, 0x39e9, v79
	v_mul_f16_sdwa v92, v39, v27 dst_sel:DWORD dst_unused:UNUSED_PAD src0_sel:WORD_1 src1_sel:DWORD
	v_add_f16_e32 v59, v85, v59
	v_add_f16_e32 v61, v61, v62
	;; [unrolled: 1-line block ×4, first 2 shown]
	v_fmamk_f16 v82, v37, 0xb964, v92
	v_mul_f16_sdwa v77, v37, v77 dst_sel:DWORD dst_unused:UNUSED_PAD src0_sel:WORD_1 src1_sel:DWORD
	v_fma_f16 v79, v39, 0x39e9, -v79
	v_mul_f16_sdwa v85, v39, v52 dst_sel:DWORD dst_unused:UNUSED_PAD src0_sel:WORD_1 src1_sel:DWORD
	v_mul_f16_sdwa v86, v37, v38 dst_sel:DWORD dst_unused:UNUSED_PAD src0_sel:WORD_1 src1_sel:DWORD
	v_add_f16_e32 v63, v82, v63
	v_fmamk_f16 v82, v39, 0x3722, v77
	v_add_f16_e32 v64, v79, v64
	v_fmamk_f16 v79, v37, 0x3b29, v85
	v_fma_f16 v77, v39, 0x3722, -v77
	v_fmac_f16_e32 v85, 0xbb29, v37
	v_add_f16_e32 v53, v82, v53
	v_mul_f16_sdwa v82, v39, v42 dst_sel:DWORD dst_unused:UNUSED_PAD src0_sel:WORD_1 src1_sel:DWORD
	v_add_f16_e32 v66, v79, v66
	v_fmamk_f16 v79, v39, 0xbbdd, v86
	v_add_f16_e32 v54, v77, v54
	v_mov_b32_e32 v77, 0x3bf7
	v_add_f16_e32 v67, v85, v67
	v_fma_f16 v85, v39, 0xbbdd, -v86
	v_add_f16_e32 v56, v79, v56
	v_fmamk_f16 v79, v37, 0x31e1, v82
	v_mul_f16_sdwa v86, v37, v77 dst_sel:DWORD dst_unused:UNUSED_PAD src0_sel:WORD_1 src1_sel:DWORD
	v_fmac_f16_e32 v82, 0xb1e1, v37
	v_mul_f16_sdwa v88, v39, v44 dst_sel:DWORD dst_unused:UNUSED_PAD src0_sel:WORD_1 src1_sel:DWORD
	v_add_f16_e32 v57, v85, v57
	v_add_f16_e32 v68, v79, v68
	v_fmamk_f16 v79, v39, 0x2de8, v86
	v_add_f16_e32 v69, v82, v69
	v_fmamk_f16 v82, v37, 0xbbf7, v88
	v_mul_f16_sdwa v85, v37, v84 dst_sel:DWORD dst_unused:UNUSED_PAD src0_sel:WORD_1 src1_sel:DWORD
	v_fma_f16 v86, v39, 0x2de8, -v86
	v_add_f16_e32 v58, v79, v58
	v_fmac_f16_e32 v88, 0x3bf7, v37
	v_add_f16_e32 v70, v82, v70
	v_fmamk_f16 v79, v39, 0x3b76, v85
	v_mul_f16_sdwa v82, v39, v89 dst_sel:DWORD dst_unused:UNUSED_PAD src0_sel:WORD_1 src1_sel:DWORD
	v_add_f16_e32 v55, v86, v55
	v_add_f16_e32 v71, v88, v71
	v_pk_mul_f16 v86, 0xb8d2, v39 op_sel_hi:[0,1]
	v_add_f16_e32 v72, v79, v72
	v_fma_f16 v39, v39, 0x3b76, -v85
	v_fmamk_f16 v79, v37, 0x35c8, v82
	v_fmac_f16_e32 v82, 0xb5c8, v37
	v_mul_f16_sdwa v88, v24, v21 dst_sel:DWORD dst_unused:UNUSED_PAD src0_sel:WORD_1 src1_sel:DWORD
	v_fmac_f16_e32 v92, 0x3964, v37
	v_pk_fma_f16 v85, 0xba62, v37, v86 op_sel:[0,0,1] op_sel_hi:[0,1,0]
	v_pk_fma_f16 v37, 0xba62, v37, v86 op_sel:[0,0,1] op_sel_hi:[0,1,0] neg_lo:[0,1,0] neg_hi:[0,1,0]
	v_add_f16_e32 v73, v79, v73
	v_add_f16_e32 v39, v39, v41
	v_add_f16_e32 v41, v82, v74
	v_fmamk_f16 v74, v26, 0xb8d2, v88
	v_mul_f16_sdwa v79, v26, v45 dst_sel:DWORD dst_unused:UNUSED_PAD src0_sel:WORD_1 src1_sel:DWORD
	v_pk_add_f16 v76, v93, v76
	v_pk_add_f16 v37, v37, v40
	v_mul_f16_sdwa v40, v24, v87 dst_sel:DWORD dst_unused:UNUSED_PAD src0_sel:WORD_1 src1_sel:DWORD
	v_add_f16_e32 v50, v74, v50
	v_fmamk_f16 v74, v24, 0x3a62, v79
	v_fma_f16 v82, v26, 0xb8d2, -v88
	v_fmac_f16_e32 v79, 0xba62, v24
	v_mul_f16_sdwa v83, v26, v83 dst_sel:DWORD dst_unused:UNUSED_PAD src0_sel:WORD_1 src1_sel:DWORD
	v_pk_add_f16 v76, v85, v76
	v_fmamk_f16 v85, v26, 0xb461, v40
	v_add_f16_e32 v46, v74, v46
	v_add_f16_e32 v74, v82, v75
	;; [unrolled: 1-line block ×3, first 2 shown]
	v_fmamk_f16 v75, v24, 0xbbb2, v83
	v_mul_f16_sdwa v79, v24, v84 dst_sel:DWORD dst_unused:UNUSED_PAD src0_sel:WORD_1 src1_sel:DWORD
	v_fma_f16 v40, v26, 0xb461, -v40
	v_fmac_f16_e32 v83, 0x3bb2, v24
	v_mul_f16_sdwa v82, v26, v89 dst_sel:DWORD dst_unused:UNUSED_PAD src0_sel:WORD_1 src1_sel:DWORD
	v_add_f16_e32 v61, v75, v61
	v_fmamk_f16 v75, v26, 0x3b76, v79
	v_add_f16_e32 v40, v40, v59
	v_add_f16_e32 v59, v83, v62
	v_fmamk_f16 v62, v24, 0x35c8, v82
	v_mul_f16_sdwa v83, v24, v81 dst_sel:DWORD dst_unused:UNUSED_PAD src0_sel:WORD_1 src1_sel:DWORD
	v_add_f16_e32 v75, v75, v80
	v_fma_f16 v79, v26, 0x3b76, -v79
	v_mul_f16_sdwa v80, v26, v51 dst_sel:DWORD dst_unused:UNUSED_PAD src0_sel:WORD_1 src1_sel:DWORD
	v_add_f16_e32 v62, v62, v63
	v_fmamk_f16 v63, v26, 0xbacd, v83
	v_add_f16_e32 v65, v92, v65
	v_fmac_f16_e32 v82, 0xb5c8, v24
	v_add_f16_e32 v64, v79, v64
	v_mul_f16_sdwa v77, v24, v77 dst_sel:DWORD dst_unused:UNUSED_PAD src0_sel:WORD_1 src1_sel:DWORD
	v_add_f16_e32 v53, v63, v53
	v_fmamk_f16 v63, v24, 0x3836, v80
	v_fma_f16 v79, v26, 0xbacd, -v83
	v_fmac_f16_e32 v80, 0xb836, v24
	v_mul_f16_sdwa v83, v26, v44 dst_sel:DWORD dst_unused:UNUSED_PAD src0_sel:WORD_1 src1_sel:DWORD
	v_add_f16_e32 v65, v82, v65
	v_fmamk_f16 v82, v26, 0x2de8, v77
	v_add_f16_e32 v63, v63, v66
	v_add_f16_e32 v54, v79, v54
	;; [unrolled: 1-line block ×3, first 2 shown]
	v_fmamk_f16 v67, v24, 0xbbf7, v83
	v_fma_f16 v77, v26, 0x2de8, -v77
	v_mul_f16_sdwa v49, v24, v49 dst_sel:DWORD dst_unused:UNUSED_PAD src0_sel:WORD_1 src1_sel:DWORD
	v_mul_f16_sdwa v79, v26, v27 dst_sel:DWORD dst_unused:UNUSED_PAD src0_sel:WORD_1 src1_sel:DWORD
	;; [unrolled: 1-line block ×3, first 2 shown]
	v_add_f16_e32 v67, v67, v68
	v_add_f16_e32 v57, v77, v57
	v_fmamk_f16 v68, v26, 0x39e9, v49
	v_fmamk_f16 v77, v24, 0x3964, v79
	v_fma_f16 v49, v26, 0x39e9, -v49
	v_fmac_f16_e32 v79, 0xb964, v24
	v_fmac_f16_e32 v83, 0x3bf7, v24
	v_add_f16_e32 v58, v68, v58
	v_add_f16_e32 v68, v77, v70
	v_fmamk_f16 v70, v26, 0xbbdd, v80
	v_add_f16_e32 v49, v49, v55
	v_mul_f16_sdwa v55, v26, v42 dst_sel:DWORD dst_unused:UNUSED_PAD src0_sel:WORD_1 src1_sel:DWORD
	v_pk_mul_f16 v77, 0x3722, v26 op_sel_hi:[0,1]
	v_fma_f16 v26, v26, 0xbbdd, -v80
	v_add_f16_e32 v71, v79, v71
	v_add_f16_e32 v70, v70, v72
	v_fmamk_f16 v72, v24, 0x31e1, v55
	v_fmac_f16_e32 v55, 0xb1e1, v24
	v_pk_fma_f16 v79, 0x3b29, v24, v77 op_sel:[0,0,1] op_sel_hi:[0,1,0]
	v_pk_fma_f16 v24, 0x3b29, v24, v77 op_sel:[0,0,1] op_sel_hi:[0,1,0] neg_lo:[0,1,0] neg_hi:[0,1,0]
	v_add_f16_e32 v26, v26, v39
	v_mul_f16_sdwa v39, v23, v51 dst_sel:DWORD dst_unused:UNUSED_PAD src0_sel:WORD_1 src1_sel:DWORD
	v_add_f16_e32 v72, v72, v73
	v_mul_f16_sdwa v73, v22, v25 dst_sel:DWORD dst_unused:UNUSED_PAD src0_sel:WORD_1 src1_sel:DWORD
	v_pk_add_f16 v24, v24, v37
	v_add_f16_e32 v60, v85, v60
	v_fmamk_f16 v37, v22, 0x3836, v39
	v_fmac_f16_e32 v39, 0xb836, v22
	v_mul_f16_sdwa v52, v23, v52 dst_sel:DWORD dst_unused:UNUSED_PAD src0_sel:WORD_1 src1_sel:DWORD
	v_mul_f16_sdwa v43, v22, v43 dst_sel:DWORD dst_unused:UNUSED_PAD src0_sel:WORD_1 src1_sel:DWORD
	;; [unrolled: 1-line block ×3, first 2 shown]
	v_add_f16_e32 v37, v37, v46
	v_fmamk_f16 v46, v23, 0x3722, v73
	v_add_f16_e32 v39, v39, v47
	v_fmamk_f16 v47, v22, 0xbb29, v52
	v_mul_f16_sdwa v45, v23, v45 dst_sel:DWORD dst_unused:UNUSED_PAD src0_sel:WORD_1 src1_sel:DWORD
	v_add_f16_e32 v56, v82, v56
	v_add_f16_e32 v46, v46, v60
	v_fma_f16 v60, v23, 0x3722, -v73
	v_fmamk_f16 v73, v23, 0x2de8, v43
	v_add_f16_e32 v47, v47, v61
	v_mul_f16_sdwa v61, v22, v91 dst_sel:DWORD dst_unused:UNUSED_PAD src0_sel:WORD_1 src1_sel:DWORD
	v_fma_f16 v43, v23, 0x2de8, -v43
	v_add_f16_e32 v40, v60, v40
	v_fmamk_f16 v60, v22, 0x3bf7, v44
	v_fmac_f16_e32 v44, 0xbbf7, v22
	v_mul_f16_sdwa v42, v23, v42 dst_sel:DWORD dst_unused:UNUSED_PAD src0_sel:WORD_1 src1_sel:DWORD
	v_add_f16_e32 v43, v43, v64
	v_fmamk_f16 v64, v22, 0xba62, v45
	v_add_f16_e32 v60, v60, v62
	v_fmamk_f16 v62, v23, 0xb8d2, v61
	v_add_f16_e32 v44, v44, v65
	v_mul_f16_sdwa v65, v22, v84 dst_sel:DWORD dst_unused:UNUSED_PAD src0_sel:WORD_1 src1_sel:DWORD
	v_fma_f16 v61, v23, 0xb8d2, -v61
	v_fmac_f16_e32 v45, 0x3a62, v22
	v_add_f16_e32 v53, v62, v53
	v_add_f16_e32 v62, v64, v63
	v_fmamk_f16 v63, v23, 0x3b76, v65
	v_mul_f16_sdwa v64, v23, v89 dst_sel:DWORD dst_unused:UNUSED_PAD src0_sel:WORD_1 src1_sel:DWORD
	v_add_f16_e32 v54, v61, v54
	v_mul_f16_sdwa v61, v22, v38 dst_sel:DWORD dst_unused:UNUSED_PAD src0_sel:WORD_1 src1_sel:DWORD
	v_fma_f16 v65, v23, 0x3b76, -v65
	v_add_f16_e32 v69, v83, v69
	v_mul_f16_sdwa v77, v22, v81 dst_sel:DWORD dst_unused:UNUSED_PAD src0_sel:WORD_1 src1_sel:DWORD
	v_add_f16_e32 v45, v45, v66
	v_add_f16_e32 v56, v63, v56
	v_fmamk_f16 v63, v22, 0x35c8, v64
	v_fmac_f16_e32 v64, 0xb5c8, v22
	v_fmamk_f16 v66, v23, 0xbbdd, v61
	v_add_f16_e32 v57, v65, v57
	v_fmamk_f16 v65, v22, 0x31e1, v42
	v_fmamk_f16 v51, v23, 0xbacd, v77
	v_add_f16_e32 v64, v64, v69
	v_add_f16_e32 v58, v66, v58
	v_fma_f16 v61, v23, 0xbbdd, -v61
	v_mul_f16_sdwa v66, v22, v48 dst_sel:DWORD dst_unused:UNUSED_PAD src0_sel:WORD_1 src1_sel:DWORD
	v_mul_f16_sdwa v27, v23, v27 dst_sel:DWORD dst_unused:UNUSED_PAD src0_sel:WORD_1 src1_sel:DWORD
	v_add_f16_e32 v65, v65, v68
	v_alignbit_b32 v68, v6, v5, 16
	v_alignbit_b32 v69, v5, v6, 16
	v_add_f16_e32 v41, v55, v41
	v_add_f16_e32 v50, v51, v50
	v_fma_f16 v51, v23, 0xbacd, -v77
	v_add_f16_e32 v63, v63, v67
	v_add_f16_e32 v49, v61, v49
	v_fmamk_f16 v61, v23, 0x39e9, v66
	v_fmamk_f16 v67, v22, 0xb964, v27
	v_fma_f16 v66, v23, 0x39e9, -v66
	v_pk_add_f16 v5, v5, v6 neg_lo:[0,1] neg_hi:[0,1]
	v_pk_add_f16 v6, v68, v69
	v_pk_mul_f16 v23, 0xb461, v23 op_sel_hi:[0,1]
	v_fmac_f16_e32 v27, 0x3964, v22
	v_pk_add_f16 v55, v79, v76
	v_fmac_f16_e32 v52, 0x3b29, v22
	v_fmac_f16_e32 v42, 0xb1e1, v22
	v_add_f16_e32 v26, v66, v26
	v_mul_f16_sdwa v38, v5, v38 dst_sel:DWORD dst_unused:UNUSED_PAD src0_sel:WORD_1 src1_sel:DWORD
	v_lshrrev_b32_e32 v66, 16, v6
	v_pk_fma_f16 v68, 0xbbb2, v22, v23 op_sel:[0,0,1] op_sel_hi:[0,1,0]
	v_pk_fma_f16 v22, 0xbbb2, v22, v23 op_sel:[0,0,1] op_sel_hi:[0,1,0] neg_lo:[0,1,0] neg_hi:[0,1,0]
	v_add_f16_e32 v23, v27, v41
	v_mul_f16_e32 v27, 0xbbdd, v6
	v_fmamk_f16 v41, v66, 0xbbdd, v38
	v_pk_add_f16 v55, v68, v55
	v_pk_add_f16 v22, v22, v24
	v_mul_f16_sdwa v24, v5, v78 dst_sel:DWORD dst_unused:UNUSED_PAD src0_sel:WORD_1 src1_sel:DWORD
	v_fmamk_f16 v68, v5, 0x31e1, v27
	v_add_f16_e32 v51, v51, v74
	v_add_f16_e32 v41, v41, v50
	v_fma_f16 v38, v66, 0xbbdd, -v38
	v_fmac_f16_e32 v27, 0xb1e1, v5
	v_fmamk_f16 v50, v66, 0x3b76, v24
	v_add_f16_e32 v37, v68, v37
	v_mul_f16_e32 v68, 0x3b76, v6
	v_add_f16_e32 v38, v38, v51
	v_add_f16_e32 v27, v27, v39
	;; [unrolled: 1-line block ×3, first 2 shown]
	v_mul_f16_sdwa v46, v5, v81 dst_sel:DWORD dst_unused:UNUSED_PAD src0_sel:WORD_1 src1_sel:DWORD
	v_fmamk_f16 v50, v5, 0xb5c8, v68
	v_mul_f16_e32 v51, 0xbacd, v6
	v_add_f16_e32 v52, v52, v59
	v_add_f16_e32 v59, v73, v75
	v_fma_f16 v24, v66, 0x3b76, -v24
	v_fmac_f16_e32 v68, 0x35c8, v5
	v_fmamk_f16 v69, v66, 0xbacd, v46
	v_add_f16_e32 v47, v50, v47
	v_fmamk_f16 v50, v5, 0x3836, v51
	v_mul_f16_sdwa v48, v5, v48 dst_sel:DWORD dst_unused:UNUSED_PAD src0_sel:WORD_1 src1_sel:DWORD
	v_add_f16_e32 v24, v24, v40
	v_add_f16_e32 v40, v68, v52
	;; [unrolled: 1-line block ×3, first 2 shown]
	v_fma_f16 v46, v66, 0xbacd, -v46
	v_fmac_f16_e32 v51, 0xb836, v5
	v_add_f16_e32 v50, v50, v60
	v_mul_f16_e32 v59, 0x39e9, v6
	v_fmamk_f16 v60, v66, 0x39e9, v48
	v_mul_f16_sdwa v21, v5, v21 dst_sel:DWORD dst_unused:UNUSED_PAD src0_sel:WORD_1 src1_sel:DWORD
	v_add_f16_e32 v43, v46, v43
	v_add_f16_e32 v44, v51, v44
	v_fmamk_f16 v46, v5, 0xb964, v59
	v_add_f16_e32 v51, v60, v53
	v_fmac_f16_e32 v59, 0x3964, v5
	v_fmamk_f16 v53, v66, 0xb8d2, v21
	v_mul_f16_sdwa v25, v5, v25 dst_sel:DWORD dst_unused:UNUSED_PAD src0_sel:WORD_1 src1_sel:DWORD
	v_fma_f16 v48, v66, 0x39e9, -v48
	v_mul_f16_e32 v60, 0xb8d2, v6
	v_add_f16_e32 v45, v59, v45
	v_add_f16_e32 v53, v53, v56
	v_fma_f16 v21, v66, 0xb8d2, -v21
	v_mul_f16_e32 v56, 0x3722, v6
	v_fmamk_f16 v59, v66, 0x3722, v25
	v_fma_f16 v25, v66, 0x3722, -v25
	v_add_f16_e32 v42, v42, v71
	v_add_f16_e32 v46, v46, v62
	;; [unrolled: 1-line block ×3, first 2 shown]
	v_fmamk_f16 v54, v5, 0x3a62, v60
	v_add_f16_e32 v21, v21, v57
	v_fmamk_f16 v57, v5, 0xbb29, v56
	v_add_f16_e32 v58, v59, v58
	v_fmac_f16_e32 v56, 0x3b29, v5
	v_mul_f16_sdwa v59, v5, v90 dst_sel:DWORD dst_unused:UNUSED_PAD src0_sel:WORD_1 src1_sel:DWORD
	v_mul_f16_e32 v62, 0xb461, v6
	v_add_f16_e32 v25, v25, v49
	v_pk_mul_f16 v49, 0x3bf7, v5 op_sel_hi:[0,1]
	v_add_f16_e32 v61, v61, v70
	v_add_f16_e32 v67, v67, v72
	;; [unrolled: 1-line block ×4, first 2 shown]
	v_fmamk_f16 v56, v66, 0xb461, v59
	v_fmamk_f16 v63, v5, 0x3bb2, v62
	v_fmac_f16_e32 v60, 0xba62, v5
	v_fmac_f16_e32 v62, 0xbbb2, v5
	v_pk_fma_f16 v5, 0x2de8, v6, v49 op_sel_hi:[0,1,1]
	v_pk_fma_f16 v6, 0x2de8, v6, v49 op_sel_hi:[0,1,1] neg_lo:[0,0,1] neg_hi:[0,0,1]
	v_fma_f16 v59, v66, 0xb461, -v59
	v_add_f16_e32 v57, v57, v65
	v_add_f16_e32 v56, v56, v61
	;; [unrolled: 1-line block ×3, first 2 shown]
	v_pk_add_f16 v5, v5, v55
	v_pack_b32_f16 v39, v39, v47
	v_pack_b32_f16 v37, v41, v37
	v_pk_add_f16 v6, v6, v22
	v_add_f16_e32 v26, v59, v26
	v_add_f16_e32 v23, v62, v23
	v_pack_b32_f16 v41, v51, v46
	v_pack_b32_f16 v46, v52, v50
	v_add_f16_e32 v60, v60, v64
	v_pack_b32_f16 v47, v58, v57
	v_pack_b32_f16 v49, v53, v54
	;; [unrolled: 1-line block ×3, first 2 shown]
	ds_write2_b32 v29, v37, v39 offset0:1 offset1:2
	ds_write2_b32 v29, v46, v41 offset0:3 offset1:4
	ds_write2_b32 v29, v49, v47 offset0:5 offset1:6
	ds_write2_b32 v29, v7, v50 offset1:7
	v_alignbit_b32 v7, v5, v6, 16
	v_alignbit_b32 v5, v6, v5, 16
	v_pack_b32_f16 v6, v25, v42
	v_pack_b32_f16 v22, v26, v23
	;; [unrolled: 1-line block ×7, first 2 shown]
	ds_write2_b32 v29, v5, v7 offset0:8 offset1:9
	ds_write2_b32 v29, v22, v6 offset0:10 offset1:11
	;; [unrolled: 1-line block ×4, first 2 shown]
	ds_write_b32 v29, v26 offset:64
	s_waitcnt lgkmcnt(0)
	s_barrier
	buffer_gl0_inv
	ds_read2_b32 v[5:6], v29 offset1:1
	ds_read2_b32 v[25:26], v29 offset0:2 offset1:3
	ds_read2_b32 v[23:24], v29 offset0:4 offset1:5
	ds_read2_b32 v[21:22], v29 offset0:6 offset1:7
	s_waitcnt lgkmcnt(3)
	v_lshrrev_b32_e32 v7, 16, v5
	v_mul_f16_sdwa v27, v16, v7 dst_sel:DWORD dst_unused:UNUSED_PAD src0_sel:WORD_1 src1_sel:DWORD
	v_fmac_f16_e32 v27, v16, v5
	v_mul_f16_sdwa v5, v16, v5 dst_sel:DWORD dst_unused:UNUSED_PAD src0_sel:WORD_1 src1_sel:DWORD
	v_cvt_f32_f16_e32 v27, v27
	v_fma_f16 v5, v16, v7, -v5
	v_lshrrev_b32_e32 v7, 16, v6
	v_cvt_f64_f32_e32 v[37:38], v27
	v_cvt_f32_f16_e32 v5, v5
	v_cvt_f64_f32_e32 v[39:40], v5
	v_mul_f64 v[37:38], v[37:38], s[2:3]
	v_mul_f64 v[39:40], v[39:40], s[2:3]
	v_and_or_b32 v5, 0x1ff, v38, v37
	v_lshrrev_b32_e32 v16, 8, v38
	v_bfe_u32 v27, v38, 20, 11
	v_mul_f16_e32 v37, v36, v7
	v_lshrrev_b32_e32 v38, 16, v38
	v_cmp_ne_u32_e32 vcc_lo, 0, v5
	v_and_or_b32 v39, 0x1ff, v40, v39
	v_bfe_u32 v45, v40, 20, 11
	v_fmac_f16_e32 v37, v17, v6
	v_mul_f16_e32 v6, v36, v6
	v_cndmask_b32_e64 v5, 0, 1, vcc_lo
	v_cmp_ne_u32_e32 vcc_lo, 0, v39
	v_lshrrev_b32_e32 v39, 8, v40
	v_cvt_f32_f16_e32 v37, v37
	v_fma_f16 v7, v17, v7, -v6
	v_and_or_b32 v43, 0xffe, v16, v5
	v_sub_nc_u32_e32 v5, 0x3f1, v27
	v_add_nc_u32_e32 v27, 0xfffffc10, v27
	v_cvt_f64_f32_e32 v[41:42], v37
	v_cndmask_b32_e64 v37, 0, 1, vcc_lo
	v_or_b32_e32 v16, 0x1000, v43
	v_med3_i32 v5, v5, 0, 13
	v_cvt_f32_f16_e32 v7, v7
	v_lshrrev_b32_e32 v40, 16, v40
	v_and_or_b32 v46, 0xffe, v39, v37
	v_lshl_or_b32 v37, v27, 12, v43
	v_lshrrev_b32_e32 v44, v5, v16
	v_or_b32_e32 v39, 0x1000, v46
	v_lshlrev_b32_e32 v5, v5, v44
	v_cmp_ne_u32_e32 vcc_lo, v5, v16
	v_sub_nc_u32_e32 v16, 0x3f1, v45
	v_cndmask_b32_e64 v5, 0, 1, vcc_lo
	v_cmp_gt_i32_e32 vcc_lo, 1, v27
	v_or_b32_e32 v36, v44, v5
	v_med3_i32 v44, v16, 0, 13
	v_mul_f64 v[16:17], v[41:42], s[2:3]
	v_mad_u64_u32 v[5:6], null, s10, v20, 0
	v_cndmask_b32_e32 v41, v37, v36, vcc_lo
	v_cvt_f64_f32_e32 v[36:37], v7
	v_lshrrev_b32_e32 v42, v44, v39
	v_and_b32_e32 v47, 7, v41
	v_mad_u64_u32 v[6:7], null, s11, v20, v[6:7]
	v_lshrrev_b32_e32 v7, 2, v41
	v_lshlrev_b32_e32 v44, v44, v42
	v_cmp_lt_i32_e32 vcc_lo, 5, v47
	v_cmp_eq_u32_e64 s0, 3, v47
	v_add_nc_u32_e32 v41, 0xfffffc10, v45
	v_cmp_ne_u32_e64 s1, v44, v39
	v_lshlrev_b64 v[5:6], 2, v[5:6]
	s_or_b32 vcc_lo, s0, vcc_lo
	v_add_co_ci_u32_e32 v7, vcc_lo, 0, v7, vcc_lo
	v_cmp_ne_u32_e32 vcc_lo, 0, v43
	v_cndmask_b32_e64 v20, 0, 1, s1
	v_and_or_b32 v16, 0x1ff, v17, v16
	v_mul_f64 v[36:37], v[36:37], s[2:3]
	v_lshrrev_b32_e32 v43, 8, v17
	v_cndmask_b32_e64 v39, 0, 1, vcc_lo
	v_cmp_gt_i32_e32 vcc_lo, 31, v27
	v_or_b32_e32 v20, v42, v20
	v_lshl_or_b32 v42, v41, 12, v46
	v_bfe_u32 v44, v17, 20, 11
	v_lshl_or_b32 v39, v39, 9, 0x7c00
	v_cndmask_b32_e32 v7, 0x7c00, v7, vcc_lo
	v_cmp_gt_i32_e32 vcc_lo, 1, v41
	v_lshrrev_b32_e32 v17, 16, v17
	v_cndmask_b32_e32 v20, v42, v20, vcc_lo
	v_cmp_ne_u32_e32 vcc_lo, 0, v16
	s_waitcnt lgkmcnt(2)
	v_lshrrev_b32_e32 v42, 16, v25
	v_cndmask_b32_e64 v16, 0, 1, vcc_lo
	v_cmp_eq_u32_e32 vcc_lo, 0x40f, v27
	v_mul_f16_sdwa v27, v18, v42 dst_sel:DWORD dst_unused:UNUSED_PAD src0_sel:WORD_1 src1_sel:DWORD
	v_and_or_b32 v36, 0x1ff, v37, v36
	v_bfe_u32 v48, v37, 20, 11
	v_and_or_b32 v16, 0xffe, v43, v16
	v_cndmask_b32_e32 v7, v7, v39, vcc_lo
	v_and_b32_e32 v39, 7, v20
	v_sub_nc_u32_e32 v43, 0x3f1, v44
	v_lshrrev_b32_e32 v20, 2, v20
	v_fmac_f16_e32 v27, v18, v25
	v_or_b32_e32 v45, 0x1000, v16
	v_cmp_lt_i32_e32 vcc_lo, 5, v39
	v_cmp_eq_u32_e64 s0, 3, v39
	v_med3_i32 v43, v43, 0, 13
	v_cvt_f32_f16_e32 v27, v27
	v_and_or_b32 v7, 0x8000, v38, v7
	v_add_nc_u32_e32 v44, 0xfffffc10, v44
	s_or_b32 vcc_lo, s0, vcc_lo
	v_lshrrev_b32_e32 v47, v43, v45
	v_add_co_ci_u32_e32 v20, vcc_lo, 0, v20, vcc_lo
	v_cmp_ne_u32_e32 vcc_lo, 0, v36
	v_cvt_f64_f32_e32 v[38:39], v27
	v_lshrrev_b32_e32 v36, 8, v37
	v_lshlrev_b32_e32 v43, v43, v47
	v_mul_f16_sdwa v25, v18, v25 dst_sel:DWORD dst_unused:UNUSED_PAD src0_sel:WORD_1 src1_sel:DWORD
	v_cndmask_b32_e64 v27, 0, 1, vcc_lo
	v_cmp_ne_u32_e32 vcc_lo, 0, v46
	v_and_b32_e32 v7, 0xffff, v7
	v_lshrrev_b32_e32 v37, 16, v37
	v_fma_f16 v18, v18, v42, -v25
	v_and_or_b32 v27, 0xffe, v36, v27
	v_cndmask_b32_e64 v46, 0, 1, vcc_lo
	v_sub_nc_u32_e32 v36, 0x3f1, v48
	v_cmp_ne_u32_e32 vcc_lo, v43, v45
	v_cvt_f32_f16_e32 v18, v18
	v_or_b32_e32 v45, 0x1000, v27
	v_lshl_or_b32 v46, v46, 9, 0x7c00
	v_med3_i32 v36, v36, 0, 13
	v_cndmask_b32_e64 v43, 0, 1, vcc_lo
	v_cmp_gt_i32_e32 vcc_lo, 31, v41
	v_add_nc_u32_e32 v42, 0xfffffc10, v48
	v_lshrrev_b32_e32 v49, v36, v45
	v_or_b32_e32 v43, v47, v43
	v_cndmask_b32_e32 v20, 0x7c00, v20, vcc_lo
	v_lshl_or_b32 v47, v44, 12, v16
	v_cmp_gt_i32_e32 vcc_lo, 1, v44
	v_lshlrev_b32_e32 v36, v36, v49
	v_mul_f64 v[38:39], v[38:39], s[2:3]
	v_cndmask_b32_e32 v43, v47, v43, vcc_lo
	v_cmp_eq_u32_e32 vcc_lo, 0x40f, v41
	v_cmp_ne_u32_e64 s0, v36, v45
	v_and_b32_e32 v25, 7, v43
	v_cndmask_b32_e32 v20, v20, v46, vcc_lo
	v_cndmask_b32_e64 v36, 0, 1, s0
	v_cmp_lt_i32_e32 vcc_lo, 5, v25
	v_cmp_eq_u32_e64 s0, 3, v25
	v_and_or_b32 v20, 0x8000, v40, v20
	v_cvt_f64_f32_e32 v[40:41], v18
	v_lshrrev_b32_e32 v18, 2, v43
	v_or_b32_e32 v25, v49, v36
	s_or_b32 vcc_lo, s0, vcc_lo
	v_lshl_or_b32 v36, v42, 12, v27
	v_lshl_or_b32 v7, v20, 16, v7
	v_add_co_ci_u32_e32 v18, vcc_lo, 0, v18, vcc_lo
	v_cmp_ne_u32_e32 vcc_lo, 0, v16
	v_and_or_b32 v38, 0x1ff, v39, v38
	v_lshrrev_b32_e32 v43, 8, v39
	v_bfe_u32 v45, v39, 20, 11
	v_cndmask_b32_e64 v16, 0, 1, vcc_lo
	v_cmp_gt_i32_e32 vcc_lo, 1, v42
	v_lshl_or_b32 v16, v16, 9, 0x7c00
	v_cndmask_b32_e32 v25, v36, v25, vcc_lo
	v_cmp_gt_i32_e32 vcc_lo, 31, v44
	v_mul_f64 v[40:41], v[40:41], s[2:3]
	v_and_b32_e32 v36, 7, v25
	v_cndmask_b32_e32 v18, 0x7c00, v18, vcc_lo
	v_cmp_ne_u32_e32 vcc_lo, 0, v38
	v_lshrrev_b32_e32 v25, 2, v25
	v_cmp_eq_u32_e64 s0, 3, v36
	v_cndmask_b32_e64 v38, 0, 1, vcc_lo
	v_cmp_eq_u32_e32 vcc_lo, 0x40f, v44
	v_and_or_b32 v20, 0xffe, v43, v38
	v_cndmask_b32_e32 v16, v18, v16, vcc_lo
	v_cmp_lt_i32_e32 vcc_lo, 5, v36
	v_lshrrev_b32_e32 v38, 16, v26
	v_sub_nc_u32_e32 v18, 0x3f1, v45
	v_or_b32_e32 v36, 0x1000, v20
	v_and_or_b32 v46, 0x8000, v17, v16
	s_or_b32 vcc_lo, s0, vcc_lo
	v_mul_f16_e32 v43, v35, v38
	v_add_co_ci_u32_e32 v25, vcc_lo, 0, v25, vcc_lo
	v_cmp_ne_u32_e32 vcc_lo, 0, v27
	v_med3_i32 v18, v18, 0, 13
	v_fmac_f16_e32 v43, v19, v26
	v_and_or_b32 v40, 0x1ff, v41, v40
	v_bfe_u32 v47, v41, 20, 11
	v_cndmask_b32_e64 v27, 0, 1, vcc_lo
	v_cmp_gt_i32_e32 vcc_lo, 31, v42
	v_lshrrev_b32_e32 v44, v18, v36
	v_cvt_f32_f16_e32 v43, v43
	v_lshl_or_b32 v27, v27, 9, 0x7c00
	v_cndmask_b32_e32 v25, 0x7c00, v25, vcc_lo
	v_cmp_ne_u32_e32 vcc_lo, 0, v40
	v_lshlrev_b32_e32 v18, v18, v44
	v_cvt_f64_f32_e32 v[16:17], v43
	v_lshrrev_b32_e32 v43, 8, v41
	v_lshrrev_b32_e32 v41, 16, v41
	v_cndmask_b32_e64 v40, 0, 1, vcc_lo
	v_cmp_ne_u32_e32 vcc_lo, v18, v36
	v_add_nc_u32_e32 v36, 0xfffffc10, v45
	v_and_or_b32 v40, 0xffe, v43, v40
	v_sub_nc_u32_e32 v43, 0x3f1, v47
	v_cndmask_b32_e64 v18, 0, 1, vcc_lo
	v_cmp_eq_u32_e32 vcc_lo, 0x40f, v42
	v_cmp_eq_u32_e64 s1, 0x40f, v36
	v_or_b32_e32 v42, 0x1000, v40
	v_med3_i32 v43, v43, 0, 13
	v_or_b32_e32 v18, v44, v18
	v_cndmask_b32_e32 v25, v25, v27, vcc_lo
	v_lshl_or_b32 v27, v36, 12, v20
	v_cmp_gt_i32_e32 vcc_lo, 1, v36
	v_lshrrev_b32_e32 v44, v43, v42
	v_and_or_b32 v25, 0x8000, v37, v25
	v_mul_f64 v[16:17], v[16:17], s[2:3]
	v_cndmask_b32_e32 v27, v27, v18, vcc_lo
	v_mul_f16_e32 v18, v35, v26
	v_lshlrev_b32_e32 v35, v43, v44
	v_and_b32_e32 v26, 0xffff, v46
	v_add_co_u32 v5, vcc_lo, s4, v5
	v_fma_f16 v18, v19, v38, -v18
	v_and_b32_e32 v37, 7, v27
	v_cmp_ne_u32_e64 s0, v35, v42
	v_add_co_ci_u32_e32 v6, vcc_lo, s5, v6, vcc_lo
	v_cvt_f32_f16_e32 v18, v18
	v_lshl_or_b32 v38, v25, 16, v26
	v_cmp_lt_i32_e32 vcc_lo, 5, v37
	v_cndmask_b32_e64 v25, 0, 1, s0
	v_cmp_eq_u32_e64 s0, 3, v37
	v_cvt_f64_f32_e32 v[18:19], v18
	v_lshrrev_b32_e32 v27, 2, v27
	v_add_nc_u32_e32 v26, 0xfffffc10, v47
	v_or_b32_e32 v25, v44, v25
	s_or_b32 vcc_lo, s0, vcc_lo
	v_and_or_b32 v16, 0x1ff, v17, v16
	v_add_co_ci_u32_e32 v27, vcc_lo, 0, v27, vcc_lo
	v_lshl_or_b32 v35, v26, 12, v40
	v_cmp_gt_i32_e32 vcc_lo, 1, v26
	v_bfe_u32 v37, v17, 20, 11
	s_lshl_b64 s[4:5], s[8:9], 2
	global_store_dword v[5:6], v7, off
	v_cndmask_b32_e32 v25, v35, v25, vcc_lo
	v_cmp_ne_u32_e32 vcc_lo, 0, v20
	v_lshrrev_b32_e32 v35, 8, v17
	v_and_b32_e32 v42, 7, v25
	v_cndmask_b32_e64 v20, 0, 1, vcc_lo
	v_cmp_gt_i32_e32 vcc_lo, 31, v36
	v_mul_f64 v[18:19], v[18:19], s[2:3]
	v_lshrrev_b32_e32 v25, 2, v25
	v_cmp_eq_u32_e64 s0, 3, v42
	v_lshl_or_b32 v20, v20, 9, 0x7c00
	v_cndmask_b32_e32 v27, 0x7c00, v27, vcc_lo
	v_cmp_ne_u32_e32 vcc_lo, 0, v16
	v_lshrrev_b32_e32 v36, 16, v39
	s_waitcnt lgkmcnt(1)
	v_lshrrev_b32_e32 v39, 16, v23
	v_cndmask_b32_e64 v20, v27, v20, s1
	v_cndmask_b32_e64 v16, 0, 1, vcc_lo
	v_cmp_lt_i32_e32 vcc_lo, 5, v42
	v_mul_f16_sdwa v43, v12, v39 dst_sel:DWORD dst_unused:UNUSED_PAD src0_sel:WORD_1 src1_sel:DWORD
	v_and_or_b32 v20, 0x8000, v36, v20
	v_and_or_b32 v16, 0xffe, v35, v16
	s_or_b32 vcc_lo, s0, vcc_lo
	v_sub_nc_u32_e32 v35, 0x3f1, v37
	v_add_co_ci_u32_e32 v25, vcc_lo, 0, v25, vcc_lo
	v_cmp_ne_u32_e32 vcc_lo, 0, v40
	v_or_b32_e32 v42, 0x1000, v16
	v_med3_i32 v35, v35, 0, 13
	v_and_or_b32 v18, 0x1ff, v19, v18
	v_fmac_f16_e32 v43, v12, v23
	v_cndmask_b32_e64 v40, 0, 1, vcc_lo
	v_cmp_gt_i32_e32 vcc_lo, 31, v26
	v_lshrrev_b32_e32 v27, v35, v42
	v_mul_f16_sdwa v23, v12, v23 dst_sel:DWORD dst_unused:UNUSED_PAD src0_sel:WORD_1 src1_sel:DWORD
	v_and_b32_e32 v20, 0xffff, v20
	v_lshl_or_b32 v40, v40, 9, 0x7c00
	v_cndmask_b32_e32 v25, 0x7c00, v25, vcc_lo
	v_cmp_eq_u32_e32 vcc_lo, 0x40f, v26
	v_lshlrev_b32_e32 v35, v35, v27
	v_cvt_f32_f16_e32 v26, v43
	v_bfe_u32 v43, v19, 20, 11
	v_fma_f16 v12, v12, v39, -v23
	v_cndmask_b32_e32 v40, v25, v40, vcc_lo
	v_cmp_ne_u32_e32 vcc_lo, 0, v18
	v_lshrrev_b32_e32 v25, 8, v19
	v_sub_nc_u32_e32 v36, 0x3f1, v43
	v_cvt_f32_f16_e32 v12, v12
	v_cndmask_b32_e64 v18, 0, 1, vcc_lo
	v_cmp_ne_u32_e32 vcc_lo, v35, v42
	v_add_nc_u32_e32 v42, 0xfffffc10, v37
	v_med3_i32 v45, v36, 0, 13
	v_and_or_b32 v18, 0xffe, v25, v18
	v_cndmask_b32_e64 v35, 0, 1, vcc_lo
	v_cvt_f64_f32_e32 v[25:26], v26
	v_lshl_or_b32 v37, v42, 12, v16
	v_or_b32_e32 v44, 0x1000, v18
	v_or_b32_e32 v27, v27, v35
	v_add_co_u32 v35, vcc_lo, v5, s4
	v_add_co_ci_u32_e32 v36, vcc_lo, s5, v6, vcc_lo
	v_cmp_gt_i32_e32 vcc_lo, 1, v42
	s_lshl_b64 s[4:5], s[8:9], 3
	global_store_dword v[35:36], v38, off
	v_cvt_f64_f32_e32 v[35:36], v12
	v_cndmask_b32_e32 v27, v37, v27, vcc_lo
	v_and_or_b32 v37, 0x8000, v41, v40
	v_lshrrev_b32_e32 v40, v45, v44
	v_and_b32_e32 v7, 7, v27
	v_lshl_or_b32 v39, v37, 16, v20
	v_lshlrev_b32_e32 v23, v45, v40
	v_mul_f64 v[25:26], v[25:26], s[2:3]
	v_cmp_lt_i32_e32 vcc_lo, 5, v7
	v_cmp_ne_u32_e64 s0, v23, v44
	v_add_nc_u32_e32 v23, 0xfffffc10, v43
	v_lshrrev_b32_e32 v43, 16, v17
	v_cndmask_b32_e64 v20, 0, 1, s0
	v_cmp_eq_u32_e64 s0, 3, v7
	v_lshrrev_b32_e32 v7, 2, v27
	v_lshrrev_b32_e32 v27, 16, v24
	v_mul_f64 v[35:36], v[35:36], s[2:3]
	v_or_b32_e32 v12, v40, v20
	s_or_b32 vcc_lo, s0, vcc_lo
	v_lshl_or_b32 v20, v23, 12, v18
	v_add_co_ci_u32_e32 v7, vcc_lo, 0, v7, vcc_lo
	v_cmp_ne_u32_e32 vcc_lo, 0, v16
	v_bfe_u32 v40, v26, 20, 11
	v_cndmask_b32_e64 v16, 0, 1, vcc_lo
	v_cmp_gt_i32_e32 vcc_lo, 1, v23
	v_lshl_or_b32 v16, v16, 9, 0x7c00
	v_cndmask_b32_e32 v12, v20, v12, vcc_lo
	v_cmp_gt_i32_e32 vcc_lo, 31, v42
	v_and_or_b32 v20, 0x1ff, v26, v25
	v_and_b32_e32 v25, 7, v12
	v_cndmask_b32_e32 v7, 0x7c00, v7, vcc_lo
	v_add_co_u32 v37, vcc_lo, v5, s4
	v_add_co_ci_u32_e32 v38, vcc_lo, s5, v6, vcc_lo
	v_cmp_eq_u32_e32 vcc_lo, 0x40f, v42
	v_cmp_ne_u32_e64 s0, 0, v20
	v_lshrrev_b32_e32 v20, 8, v26
	v_lshrrev_b32_e32 v12, 2, v12
	v_and_or_b32 v35, 0x1ff, v36, v35
	v_cndmask_b32_e32 v7, v7, v16, vcc_lo
	v_cndmask_b32_e64 v16, 0, 1, s0
	v_cmp_lt_i32_e32 vcc_lo, 5, v25
	v_cmp_eq_u32_e64 s0, 3, v25
	v_lshrrev_b32_e32 v44, 8, v36
	v_bfe_u32 v45, v36, 20, 11
	v_and_or_b32 v25, 0xffe, v20, v16
	v_mul_f16_e32 v16, v34, v27
	s_or_b32 vcc_lo, s0, vcc_lo
	v_sub_nc_u32_e32 v20, 0x3f1, v40
	v_add_co_ci_u32_e32 v12, vcc_lo, 0, v12, vcc_lo
	v_fmac_f16_e32 v16, v13, v24
	v_cmp_ne_u32_e32 vcc_lo, 0, v18
	v_or_b32_e32 v41, 0x1000, v25
	v_med3_i32 v20, v20, 0, 13
	v_add_nc_u32_e32 v40, 0xfffffc10, v40
	v_cvt_f32_f16_e32 v16, v16
	v_cndmask_b32_e64 v18, 0, 1, vcc_lo
	v_cmp_gt_i32_e32 vcc_lo, 31, v23
	v_lshrrev_b32_e32 v42, v20, v41
	v_and_or_b32 v7, 0x8000, v43, v7
	v_cvt_f64_f32_e32 v[16:17], v16
	v_lshl_or_b32 v18, v18, 9, 0x7c00
	v_cndmask_b32_e32 v12, 0x7c00, v12, vcc_lo
	v_cmp_ne_u32_e32 vcc_lo, 0, v35
	v_lshlrev_b32_e32 v20, v20, v42
	v_and_b32_e32 v7, 0xffff, v7
	global_store_dword v[37:38], v39, off
	v_add_nc_u32_e32 v38, 0xfffffc10, v45
	v_cndmask_b32_e64 v35, 0, 1, vcc_lo
	v_cmp_eq_u32_e32 vcc_lo, 0x40f, v23
	v_lshrrev_b32_e32 v23, 16, v19
	v_lshrrev_b32_e32 v26, 16, v26
	s_lshl_b64 s[4:5], s[8:9], 4
	v_and_or_b32 v35, 0xffe, v44, v35
	v_cndmask_b32_e32 v12, v12, v18, vcc_lo
	v_cmp_ne_u32_e32 vcc_lo, v20, v41
	v_sub_nc_u32_e32 v18, 0x3f1, v45
	v_mul_f16_e32 v20, v34, v24
	v_or_b32_e32 v41, 0x1000, v35
	v_lshl_or_b32 v34, v40, 12, v25
	v_cndmask_b32_e64 v19, 0, 1, vcc_lo
	v_med3_i32 v24, v18, 0, 13
	v_cmp_gt_i32_e32 vcc_lo, 1, v40
	v_fma_f16 v13, v13, v27, -v20
	v_mul_f64 v[17:18], v[16:17], s[2:3]
	v_or_b32_e32 v19, v42, v19
	v_lshrrev_b32_e32 v27, v24, v41
	v_and_or_b32 v23, 0x8000, v23, v12
	v_cvt_f32_f16_e32 v13, v13
	v_cndmask_b32_e32 v16, v34, v19, vcc_lo
	v_mad_u64_u32 v[19:20], null, s8, 12, v[5:6]
	v_lshlrev_b32_e32 v24, v24, v27
	v_cvt_f64_f32_e32 v[12:13], v13
	v_and_b32_e32 v34, 7, v16
	v_lshl_or_b32 v37, v23, 16, v7
	v_cmp_ne_u32_e64 s0, v24, v41
	v_mov_b32_e32 v7, v20
	v_cmp_lt_i32_e32 vcc_lo, 5, v34
	v_cndmask_b32_e64 v20, 0, 1, s0
	v_cmp_eq_u32_e64 s0, 3, v34
	v_mad_u64_u32 v[23:24], null, s9, 12, v[7:8]
	v_lshrrev_b32_e32 v7, 2, v16
	v_and_or_b32 v17, 0x1ff, v18, v17
	s_or_b32 vcc_lo, s0, vcc_lo
	v_or_b32_e32 v16, v27, v20
	v_lshl_or_b32 v20, v38, 12, v35
	v_add_co_ci_u32_e32 v7, vcc_lo, 0, v7, vcc_lo
	v_cmp_ne_u32_e32 vcc_lo, 0, v25
	v_mul_f64 v[24:25], v[12:13], s[2:3]
	v_lshrrev_b32_e32 v13, 8, v18
	v_cndmask_b32_e64 v27, 0, 1, vcc_lo
	v_cmp_ne_u32_e32 vcc_lo, 0, v17
	v_bfe_u32 v17, v18, 20, 11
	v_cndmask_b32_e64 v12, 0, 1, vcc_lo
	v_cmp_gt_i32_e32 vcc_lo, 1, v38
	v_add_nc_u32_e32 v42, 0xfffffc10, v17
	v_and_or_b32 v34, 0xffe, v13, v12
	v_cndmask_b32_e32 v16, v20, v16, vcc_lo
	v_cmp_gt_i32_e32 vcc_lo, 31, v40
	v_lshl_or_b32 v13, v27, 9, 0x7c00
	v_sub_nc_u32_e32 v12, 0x3f1, v17
	v_mov_b32_e32 v20, v23
	v_and_b32_e32 v27, 7, v16
	v_cndmask_b32_e32 v7, 0x7c00, v7, vcc_lo
	v_cmp_eq_u32_e32 vcc_lo, 0x40f, v40
	v_or_b32_e32 v23, 0x1000, v34
	v_med3_i32 v12, v12, 0, 13
	v_cmp_eq_u32_e64 s0, 3, v27
	v_bfe_u32 v41, v25, 20, 11
	v_cndmask_b32_e32 v7, v7, v13, vcc_lo
	v_cmp_lt_i32_e32 vcc_lo, 5, v27
	v_lshrrev_b32_e32 v13, 2, v16
	s_waitcnt lgkmcnt(0)
	v_lshrrev_b32_e32 v27, 16, v21
	v_and_or_b32 v16, 0x1ff, v25, v24
	v_lshrrev_b32_e32 v39, v12, v23
	s_or_b32 vcc_lo, s0, vcc_lo
	v_and_or_b32 v7, 0x8000, v26, v7
	v_add_co_ci_u32_e32 v40, vcc_lo, 0, v13, vcc_lo
	v_mul_f16_sdwa v24, v14, v27 dst_sel:DWORD dst_unused:UNUSED_PAD src0_sel:WORD_1 src1_sel:DWORD
	v_cmp_ne_u32_e32 vcc_lo, 0, v35
	v_lshlrev_b32_e32 v12, v12, v39
	global_store_dword v[19:20], v37, off
	v_and_b32_e32 v7, 0xffff, v7
	v_fmac_f16_e32 v24, v14, v21
	v_cndmask_b32_e64 v35, 0, 1, vcc_lo
	v_cmp_ne_u32_e32 vcc_lo, 0, v16
	v_lshrrev_b32_e32 v16, 8, v25
	v_mul_f16_sdwa v21, v14, v21 dst_sel:DWORD dst_unused:UNUSED_PAD src0_sel:WORD_1 src1_sel:DWORD
	v_cvt_f32_f16_e32 v24, v24
	v_lshrrev_b32_e32 v25, 16, v25
	v_cndmask_b32_e64 v13, 0, 1, vcc_lo
	v_cmp_ne_u32_e32 vcc_lo, v12, v23
	v_fma_f16 v14, v14, v27, -v21
	v_and_or_b32 v43, 0xffe, v16, v13
	v_cvt_f64_f32_e32 v[12:13], v24
	v_cndmask_b32_e64 v23, 0, 1, vcc_lo
	v_sub_nc_u32_e32 v16, 0x3f1, v41
	v_cmp_gt_i32_e32 vcc_lo, 31, v38
	v_or_b32_e32 v24, 0x1000, v43
	v_cvt_f32_f16_e32 v14, v14
	v_or_b32_e32 v17, v39, v23
	v_lshl_or_b32 v23, v42, 12, v34
	v_med3_i32 v39, v16, 0, 13
	v_cndmask_b32_e32 v16, 0x7c00, v40, vcc_lo
	v_cmp_gt_i32_e32 vcc_lo, 1, v42
	v_cndmask_b32_e32 v21, v23, v17, vcc_lo
	v_lshl_or_b32 v17, v35, 9, 0x7c00
	v_cmp_eq_u32_e32 vcc_lo, 0x40f, v38
	v_lshrrev_b32_e32 v23, v39, v24
	v_lshrrev_b32_e32 v35, 16, v36
	v_and_b32_e32 v26, 7, v21
	v_lshrrev_b32_e32 v21, 2, v21
	v_cndmask_b32_e32 v27, v16, v17, vcc_lo
	v_cvt_f64_f32_e32 v[16:17], v14
	v_mul_f64 v[13:14], v[12:13], s[2:3]
	v_lshlrev_b32_e32 v36, v39, v23
	v_cmp_lt_i32_e32 vcc_lo, 5, v26
	v_cmp_eq_u32_e64 s0, 3, v26
	v_add_nc_u32_e32 v26, 0xfffffc10, v41
	v_and_or_b32 v12, 0x8000, v35, v27
	v_cmp_ne_u32_e64 s1, v36, v24
	s_or_b32 vcc_lo, s0, vcc_lo
	v_add_co_ci_u32_e32 v21, vcc_lo, 0, v21, vcc_lo
	v_cndmask_b32_e64 v24, 0, 1, s1
	v_cmp_ne_u32_e32 vcc_lo, 0, v34
	v_lshrrev_b32_e32 v34, 16, v22
	v_or_b32_e32 v23, v23, v24
	v_lshl_or_b32 v24, v26, 12, v43
	v_cndmask_b32_e64 v27, 0, 1, vcc_lo
	v_cmp_gt_i32_e32 vcc_lo, 1, v26
	v_mul_f64 v[16:17], v[16:17], s[2:3]
	v_and_or_b32 v13, 0x1ff, v14, v13
	v_mul_f16_e32 v38, v28, v34
	v_cndmask_b32_e32 v19, v24, v23, vcc_lo
	v_cmp_gt_i32_e32 vcc_lo, 31, v42
	v_cmp_ne_u32_e64 s0, 0, v13
	v_lshl_or_b32 v24, v12, 16, v7
	v_lshrrev_b32_e32 v12, 8, v14
	v_and_b32_e32 v23, 7, v19
	v_cndmask_b32_e32 v20, 0x7c00, v21, vcc_lo
	v_lshl_or_b32 v21, v27, 9, 0x7c00
	v_cmp_eq_u32_e32 vcc_lo, 0x40f, v42
	v_cndmask_b32_e64 v7, 0, 1, s0
	v_cmp_eq_u32_e64 s0, 3, v23
	v_bfe_u32 v13, v14, 20, 11
	v_fmac_f16_e32 v38, v15, v22
	v_cndmask_b32_e32 v20, v20, v21, vcc_lo
	v_cmp_lt_i32_e32 vcc_lo, 5, v23
	v_lshrrev_b32_e32 v21, 16, v18
	v_lshrrev_b32_e32 v18, 2, v19
	v_and_or_b32 v23, 0xffe, v12, v7
	v_sub_nc_u32_e32 v7, 0x3f1, v13
	s_or_b32 vcc_lo, s0, vcc_lo
	v_and_or_b32 v16, 0x1ff, v17, v16
	v_add_co_ci_u32_e32 v12, vcc_lo, 0, v18, vcc_lo
	v_cmp_ne_u32_e32 vcc_lo, 0, v43
	v_or_b32_e32 v18, 0x1000, v23
	v_med3_i32 v7, v7, 0, 13
	v_lshrrev_b32_e32 v35, 8, v17
	v_bfe_u32 v36, v17, 20, 11
	v_cndmask_b32_e64 v19, 0, 1, vcc_lo
	v_cmp_gt_i32_e32 vcc_lo, 31, v26
	v_lshrrev_b32_e32 v27, v7, v18
	v_mul_f16_e32 v22, v28, v22
	v_and_or_b32 v40, 0x8000, v21, v20
	v_lshl_or_b32 v19, v19, 9, 0x7c00
	v_cndmask_b32_e32 v12, 0x7c00, v12, vcc_lo
	v_cmp_ne_u32_e32 vcc_lo, 0, v16
	v_lshlrev_b32_e32 v37, v7, v27
	v_fma_f16 v15, v15, v34, -v22
	v_mad_u64_u32 v[20:21], null, s8, 20, v[5:6]
	v_cndmask_b32_e64 v16, 0, 1, vcc_lo
	v_cmp_eq_u32_e32 vcc_lo, 0x40f, v26
	v_cvt_f32_f16_e32 v15, v15
	v_lshrrev_b32_e32 v17, 16, v17
	v_lshrrev_b32_e32 v14, 16, v14
	v_and_or_b32 v7, 0xffe, v35, v16
	v_cndmask_b32_e32 v26, v12, v19, vcc_lo
	v_cmp_ne_u32_e32 vcc_lo, v37, v18
	v_add_nc_u32_e32 v37, 0xfffffc10, v13
	v_cvt_f32_f16_e32 v13, v38
	v_sub_nc_u32_e32 v16, 0x3f1, v36
	v_or_b32_e32 v35, 0x1000, v7
	v_cndmask_b32_e64 v12, 0, 1, vcc_lo
	v_add_co_u32 v18, vcc_lo, v5, s4
	v_med3_i32 v16, v16, 0, 13
	v_add_co_ci_u32_e32 v19, vcc_lo, s5, v6, vcc_lo
	v_or_b32_e32 v27, v27, v12
	v_cvt_f64_f32_e32 v[12:13], v13
	v_lshrrev_b32_e32 v38, v16, v35
	v_lshl_or_b32 v39, v37, 12, v23
	v_cmp_gt_i32_e32 vcc_lo, 1, v37
	v_and_or_b32 v25, 0x8000, v25, v26
	global_store_dword v[18:19], v24, off
	v_lshlrev_b32_e32 v16, v16, v38
	s_lshl_b64 s[4:5], s[8:9], 5
	v_cndmask_b32_e32 v26, v39, v27, vcc_lo
	v_and_b32_e32 v27, 0xffff, v40
	v_cmp_ne_u32_e32 vcc_lo, v16, v35
	v_add_nc_u32_e32 v35, 0xfffffc10, v36
	v_and_b32_e32 v28, 7, v26
	v_lshrrev_b32_e32 v24, 2, v26
	v_lshl_or_b32 v34, v25, 16, v27
	v_cndmask_b32_e64 v16, 0, 1, vcc_lo
	v_lshl_or_b32 v22, v35, 12, v7
	v_cmp_lt_i32_e32 vcc_lo, 5, v28
	v_cmp_eq_u32_e64 s0, 3, v28
	v_cmp_gt_i32_e64 s1, 1, v35
	v_or_b32_e32 v16, v38, v16
	v_mul_f64 v[18:19], v[12:13], s[2:3]
	v_cvt_f64_f32_e32 v[12:13], v15
	s_or_b32 vcc_lo, s0, vcc_lo
	v_mov_b32_e32 v15, v21
	v_add_co_ci_u32_e32 v24, vcc_lo, 0, v24, vcc_lo
	v_cmp_ne_u32_e32 vcc_lo, 0, v23
	v_cndmask_b32_e64 v16, v22, v16, s1
	ds_read2_b32 v[22:23], v29 offset0:8 offset1:9
	v_cmp_eq_u32_e64 s1, 0x40f, v37
	v_cndmask_b32_e64 v26, 0, 1, vcc_lo
	v_cmp_gt_i32_e32 vcc_lo, 31, v37
	v_and_b32_e32 v25, 7, v16
	v_lshrrev_b32_e32 v21, 2, v16
	v_lshl_or_b32 v28, v26, 9, 0x7c00
	v_cndmask_b32_e32 v24, 0x7c00, v24, vcc_lo
	v_mad_u64_u32 v[26:27], null, s9, 20, v[15:16]
	v_cmp_lt_i32_e32 vcc_lo, 5, v25
	v_cmp_eq_u32_e64 s0, 3, v25
	v_and_or_b32 v15, 0x1ff, v19, v18
	v_cndmask_b32_e64 v18, v24, v28, s1
	v_mul_f64 v[24:25], v[12:13], s[2:3]
	v_lshrrev_b32_e32 v37, 8, v19
	s_or_b32 vcc_lo, s0, vcc_lo
	v_cmp_ne_u32_e64 s1, 0, v15
	s_waitcnt lgkmcnt(0)
	v_lshrrev_b32_e32 v39, 16, v22
	v_add_co_ci_u32_e32 v21, vcc_lo, 0, v21, vcc_lo
	v_bfe_u32 v40, v19, 20, 11
	v_cndmask_b32_e64 v36, 0, 1, s1
	v_cmp_ne_u32_e32 vcc_lo, 0, v7
	v_and_or_b32 v14, 0x8000, v14, v18
	ds_read2_b32 v[27:28], v29 offset0:10 offset1:11
	ds_read2_b32 v[15:16], v29 offset0:12 offset1:13
	;; [unrolled: 1-line block ×3, first 2 shown]
	v_and_or_b32 v41, 0xffe, v37, v36
	v_mul_f16_sdwa v36, v8, v39 dst_sel:DWORD dst_unused:UNUSED_PAD src0_sel:WORD_1 src1_sel:DWORD
	v_sub_nc_u32_e32 v37, 0x3f1, v40
	v_cndmask_b32_e64 v7, 0, 1, vcc_lo
	v_cmp_gt_i32_e32 vcc_lo, 31, v35
	v_or_b32_e32 v42, 0x1000, v41
	v_fmac_f16_e32 v36, v8, v22
	v_med3_i32 v37, v37, 0, 13
	v_lshl_or_b32 v7, v7, 9, 0x7c00
	v_cndmask_b32_e32 v21, 0x7c00, v21, vcc_lo
	v_and_or_b32 v24, 0x1ff, v25, v24
	v_cvt_f32_f16_e32 v36, v36
	v_cmp_eq_u32_e32 vcc_lo, 0x40f, v35
	v_lshrrev_b32_e32 v43, v37, v42
	v_lshrrev_b32_e32 v44, 8, v25
	v_bfe_u32 v45, v25, 20, 11
	v_cvt_f64_f32_e32 v[35:36], v36
	v_cndmask_b32_e32 v7, v21, v7, vcc_lo
	v_cmp_ne_u32_e32 vcc_lo, 0, v24
	v_lshlrev_b32_e32 v21, v37, v43
	v_mad_u64_u32 v[37:38], null, s8, 24, v[5:6]
	v_and_or_b32 v46, 0x8000, v17, v7
	v_cndmask_b32_e64 v24, 0, 1, vcc_lo
	v_sub_nc_u32_e32 v7, 0x3f1, v45
	v_cmp_ne_u32_e32 vcc_lo, v21, v42
	v_mul_f16_sdwa v22, v8, v22 dst_sel:DWORD dst_unused:UNUSED_PAD src0_sel:WORD_1 src1_sel:DWORD
	v_add_nc_u32_e32 v40, 0xfffffc10, v40
	v_and_or_b32 v24, 0xffe, v44, v24
	v_med3_i32 v21, v7, 0, 13
	v_cndmask_b32_e64 v17, 0, 1, vcc_lo
	v_fma_f16 v22, v8, v39, -v22
	v_mov_b32_e32 v7, v38
	v_or_b32_e32 v42, 0x1000, v24
	v_cmp_gt_i32_e32 vcc_lo, 1, v40
	v_or_b32_e32 v38, v43, v17
	v_lshl_or_b32 v43, v40, 12, v41
	v_cvt_f32_f16_e32 v22, v22
	v_lshrrev_b32_e32 v44, v21, v42
	v_mul_f64 v[17:18], v[35:36], s[2:3]
	v_mad_u64_u32 v[7:8], null, s9, 24, v[7:8]
	v_cndmask_b32_e32 v8, v43, v38, vcc_lo
	v_lshlrev_b32_e32 v38, v21, v44
	v_cvt_f64_f32_e32 v[35:36], v22
	v_mov_b32_e32 v21, v26
	v_and_b32_e32 v14, 0xffff, v14
	v_and_b32_e32 v26, 7, v8
	v_cmp_ne_u32_e32 vcc_lo, v38, v42
	v_lshrrev_b32_e32 v8, 2, v8
	v_add_nc_u32_e32 v39, 0xfffffc10, v45
	global_store_dword v[20:21], v34, off
	v_cmp_eq_u32_e64 s0, 3, v26
	v_cndmask_b32_e64 v22, 0, 1, vcc_lo
	v_cmp_lt_i32_e32 vcc_lo, 5, v26
	v_lshl_or_b32 v14, v46, 16, v14
	v_mov_b32_e32 v38, v7
	v_cmp_gt_i32_e64 s1, 1, v39
	v_or_b32_e32 v7, v44, v22
	s_or_b32 vcc_lo, s0, vcc_lo
	v_lshl_or_b32 v22, v39, 12, v24
	v_add_co_ci_u32_e32 v21, vcc_lo, 0, v8, vcc_lo
	v_and_or_b32 v17, 0x1ff, v18, v17
	v_cmp_ne_u32_e32 vcc_lo, 0, v41
	v_cndmask_b32_e64 v20, v22, v7, s1
	global_store_dword v[37:38], v14, off
	v_mul_f64 v[7:8], v[35:36], s[2:3]
	v_lshrrev_b32_e32 v26, 8, v18
	v_cndmask_b32_e64 v14, 0, 1, vcc_lo
	v_cmp_ne_u32_e32 vcc_lo, 0, v17
	v_and_b32_e32 v22, 7, v20
	v_bfe_u32 v34, v18, 20, 11
	v_lshrrev_b32_e32 v20, 2, v20
	v_lshrrev_b32_e32 v35, 16, v23
	v_cndmask_b32_e64 v17, 0, 1, vcc_lo
	v_cmp_gt_i32_e32 vcc_lo, 31, v40
	v_cmp_eq_u32_e64 s0, 3, v22
	v_lshl_or_b32 v14, v14, 9, 0x7c00
	v_cmp_eq_u32_e64 s1, 0x40f, v40
	v_and_or_b32 v17, 0xffe, v26, v17
	v_cndmask_b32_e32 v21, 0x7c00, v21, vcc_lo
	v_cmp_lt_i32_e32 vcc_lo, 5, v22
	v_sub_nc_u32_e32 v26, 0x3f1, v34
	v_lshrrev_b32_e32 v38, 16, v19
	v_add_nc_u32_e32 v34, 0xfffffc10, v34
	v_cndmask_b32_e64 v14, v21, v14, s1
	s_or_b32 vcc_lo, s0, vcc_lo
	v_med3_i32 v22, v26, 0, 13
	v_add_co_ci_u32_e32 v20, vcc_lo, 0, v20, vcc_lo
	v_cmp_ne_u32_e32 vcc_lo, 0, v24
	v_mul_f16_e32 v26, v33, v35
	v_or_b32_e32 v21, 0x1000, v17
	v_and_or_b32 v7, 0x1ff, v8, v7
	v_bfe_u32 v40, v8, 20, 11
	v_cndmask_b32_e64 v24, 0, 1, vcc_lo
	v_cmp_gt_i32_e32 vcc_lo, 31, v39
	v_fmac_f16_e32 v26, v9, v23
	v_lshrrev_b32_e32 v36, v22, v21
	v_mul_f16_e32 v23, v33, v23
	v_lshl_or_b32 v24, v24, 9, 0x7c00
	v_cndmask_b32_e32 v37, 0x7c00, v20, vcc_lo
	v_cmp_ne_u32_e32 vcc_lo, 0, v7
	v_cvt_f32_f16_e32 v19, v26
	v_lshlrev_b32_e32 v22, v22, v36
	v_lshrrev_b32_e32 v26, 8, v8
	v_lshl_or_b32 v33, v34, 12, v17
	v_cndmask_b32_e64 v7, 0, 1, vcc_lo
	v_cmp_eq_u32_e32 vcc_lo, 0x40f, v39
	v_cvt_f64_f32_e32 v[19:20], v19
	v_lshrrev_b32_e32 v25, 16, v25
	v_fma_f16 v9, v9, v35, -v23
	v_and_or_b32 v14, 0x8000, v38, v14
	v_cndmask_b32_e32 v24, v37, v24, vcc_lo
	v_cmp_ne_u32_e32 vcc_lo, v22, v21
	v_and_or_b32 v37, 0xffe, v26, v7
	v_sub_nc_u32_e32 v7, 0x3f1, v40
	v_cvt_f32_f16_e32 v9, v9
	v_and_or_b32 v38, 0x8000, v25, v24
	v_cndmask_b32_e64 v21, 0, 1, vcc_lo
	v_cmp_gt_i32_e32 vcc_lo, 1, v34
	v_med3_i32 v7, v7, 0, 13
	v_cvt_f64_f32_e32 v[23:24], v9
	v_and_b32_e32 v14, 0xffff, v14
	v_or_b32_e32 v26, v36, v21
	v_or_b32_e32 v36, 0x1000, v37
	v_mad_u64_u32 v[21:22], null, s8, 28, v[5:6]
	v_lshl_or_b32 v14, v38, 16, v14
	v_cndmask_b32_e32 v33, v33, v26, vcc_lo
	v_lshrrev_b32_e32 v35, v7, v36
	v_mul_f64 v[19:20], v[19:20], s[2:3]
	v_and_b32_e32 v25, 7, v33
	v_lshlrev_b32_e32 v26, v7, v35
	v_mov_b32_e32 v7, v22
	v_cmp_lt_i32_e32 vcc_lo, 5, v25
	v_cmp_eq_u32_e64 s0, 3, v25
	v_cmp_ne_u32_e64 s1, v26, v36
	v_mad_u64_u32 v[25:26], null, s9, 28, v[7:8]
	v_lshrrev_b32_e32 v7, 2, v33
	s_or_b32 vcc_lo, s0, vcc_lo
	v_cndmask_b32_e64 v9, 0, 1, s1
	v_add_nc_u32_e32 v36, 0xfffffc10, v40
	v_mul_f64 v[23:24], v[23:24], s[2:3]
	v_add_co_ci_u32_e32 v7, vcc_lo, 0, v7, vcc_lo
	v_cmp_ne_u32_e32 vcc_lo, 0, v17
	v_or_b32_e32 v9, v35, v9
	v_lshl_or_b32 v22, v36, 12, v37
	v_and_or_b32 v19, 0x1ff, v20, v19
	v_lshrrev_b32_e32 v26, 8, v20
	v_cndmask_b32_e64 v17, 0, 1, vcc_lo
	v_cmp_gt_i32_e32 vcc_lo, 1, v36
	v_bfe_u32 v33, v20, 20, 11
	v_lshrrev_b32_e32 v20, 16, v20
	v_lshl_or_b32 v17, v17, 9, 0x7c00
	v_cndmask_b32_e32 v9, v22, v9, vcc_lo
	v_cmp_gt_i32_e32 vcc_lo, 31, v34
	v_mov_b32_e32 v22, v25
	v_sub_nc_u32_e32 v25, 0x3f1, v33
	v_add_nc_u32_e32 v33, 0xfffffc10, v33
	v_and_b32_e32 v35, 7, v9
	v_cndmask_b32_e32 v7, 0x7c00, v7, vcc_lo
	v_cmp_ne_u32_e32 vcc_lo, 0, v19
	v_lshrrev_b32_e32 v9, 2, v9
	v_and_or_b32 v23, 0x1ff, v24, v23
	v_cmp_eq_u32_e64 s0, 3, v35
	v_lshrrev_b32_e32 v39, 8, v24
	v_cndmask_b32_e64 v19, 0, 1, vcc_lo
	v_cmp_eq_u32_e32 vcc_lo, 0x40f, v34
	s_waitcnt lgkmcnt(2)
	v_lshrrev_b32_e32 v34, 16, v27
	v_bfe_u32 v40, v24, 20, 11
	global_store_dword v[21:22], v14, off
	v_and_or_b32 v19, 0xffe, v26, v19
	v_cndmask_b32_e32 v7, v7, v17, vcc_lo
	v_cmp_lt_i32_e32 vcc_lo, 5, v35
	v_med3_i32 v17, v25, 0, 13
	v_lshrrev_b32_e32 v25, 16, v18
	v_or_b32_e32 v26, 0x1000, v19
	v_mul_f16_sdwa v18, v10, v34 dst_sel:DWORD dst_unused:UNUSED_PAD src0_sel:WORD_1 src1_sel:DWORD
	s_or_b32 vcc_lo, s0, vcc_lo
	v_add_nc_u32_e32 v21, 0xfffffc10, v40
	v_add_co_ci_u32_e32 v9, vcc_lo, 0, v9, vcc_lo
	v_cmp_ne_u32_e32 vcc_lo, 0, v37
	v_lshrrev_b32_e32 v35, v17, v26
	v_fmac_f16_e32 v18, v10, v27
	v_mul_f16_sdwa v27, v10, v27 dst_sel:DWORD dst_unused:UNUSED_PAD src0_sel:WORD_1 src1_sel:DWORD
	v_and_or_b32 v25, 0x8000, v25, v7
	v_cndmask_b32_e64 v37, 0, 1, vcc_lo
	v_cmp_gt_i32_e32 vcc_lo, 31, v36
	v_lshlrev_b32_e32 v38, v17, v35
	v_cvt_f32_f16_e32 v17, v18
	v_cmp_eq_u32_e64 s1, 0x40f, v33
	v_lshl_or_b32 v37, v37, 9, 0x7c00
	v_cndmask_b32_e32 v9, 0x7c00, v9, vcc_lo
	v_cmp_ne_u32_e32 vcc_lo, 0, v23
	v_cvt_f64_f32_e32 v[17:18], v17
	v_lshrrev_b32_e32 v24, 16, v24
	v_cndmask_b32_e64 v23, 0, 1, vcc_lo
	v_cmp_ne_u32_e32 vcc_lo, v38, v26
	v_sub_nc_u32_e32 v38, 0x3f1, v40
	v_and_or_b32 v23, 0xffe, v39, v23
	v_cndmask_b32_e64 v26, 0, 1, vcc_lo
	v_med3_i32 v38, v38, 0, 13
	v_cmp_eq_u32_e32 vcc_lo, 0x40f, v36
	v_lshl_or_b32 v39, v33, 12, v19
	v_or_b32_e32 v26, v35, v26
	v_or_b32_e32 v35, 0x1000, v23
	v_cndmask_b32_e32 v36, v9, v37, vcc_lo
	v_fma_f16 v9, v10, v34, -v27
	v_cmp_gt_i32_e32 vcc_lo, 1, v33
	v_lshrrev_b32_e32 v34, 16, v8
	v_lshrrev_b32_e32 v27, v38, v35
	v_mul_f64 v[7:8], v[17:18], s[2:3]
	v_cvt_f32_f16_e32 v9, v9
	v_cndmask_b32_e32 v26, v39, v26, vcc_lo
	v_and_or_b32 v17, 0x8000, v34, v36
	v_lshlrev_b32_e32 v37, v38, v27
	v_and_b32_e32 v18, 0xffff, v25
	v_cvt_f64_f32_e32 v[9:10], v9
	v_and_b32_e32 v38, 7, v26
	v_cmp_ne_u32_e64 s0, v37, v35
	v_lshl_or_b32 v22, v17, 16, v18
	v_lshrrev_b32_e32 v17, 2, v26
	v_cmp_lt_i32_e32 vcc_lo, 5, v38
	v_lshl_or_b32 v18, v21, 12, v23
	v_cndmask_b32_e64 v14, 0, 1, s0
	v_cmp_eq_u32_e64 s0, 3, v38
	v_or_b32_e32 v14, v27, v14
	s_or_b32 vcc_lo, s0, vcc_lo
	v_add_co_ci_u32_e32 v17, vcc_lo, 0, v17, vcc_lo
	v_cmp_ne_u32_e32 vcc_lo, 0, v19
	v_and_or_b32 v7, 0x1ff, v8, v7
	v_lshrrev_b32_e32 v25, 8, v8
	v_bfe_u32 v26, v8, 20, 11
	v_mul_f64 v[9:10], v[9:10], s[2:3]
	v_cndmask_b32_e64 v19, 0, 1, vcc_lo
	v_cmp_gt_i32_e32 vcc_lo, 1, v21
	v_lshl_or_b32 v19, v19, 9, 0x7c00
	v_cndmask_b32_e32 v14, v18, v14, vcc_lo
	v_cmp_gt_i32_e32 vcc_lo, 31, v33
	v_lshrrev_b32_e32 v33, 16, v28
	v_and_b32_e32 v18, 7, v14
	v_cndmask_b32_e32 v17, 0x7c00, v17, vcc_lo
	v_cmp_ne_u32_e32 vcc_lo, 0, v7
	v_lshrrev_b32_e32 v14, 2, v14
	v_cmp_eq_u32_e64 s0, 3, v18
	v_cndmask_b32_e64 v17, v17, v19, s1
	v_cndmask_b32_e64 v7, 0, 1, vcc_lo
	v_cmp_lt_i32_e32 vcc_lo, 5, v18
	v_sub_nc_u32_e32 v18, 0x3f1, v26
	v_and_or_b32 v9, 0x1ff, v10, v9
	v_and_or_b32 v27, 0x8000, v20, v17
	v_and_or_b32 v7, 0xffe, v25, v7
	s_or_b32 vcc_lo, s0, vcc_lo
	v_med3_i32 v18, v18, 0, 13
	v_add_co_ci_u32_e32 v14, vcc_lo, 0, v14, vcc_lo
	v_cmp_ne_u32_e32 vcc_lo, 0, v23
	v_or_b32_e32 v19, 0x1000, v7
	v_bfe_u32 v34, v10, 20, 11
	v_mul_f16_e32 v20, v32, v33
	v_add_nc_u32_e32 v26, 0xfffffc10, v26
	v_cndmask_b32_e64 v23, 0, 1, vcc_lo
	v_cmp_gt_i32_e32 vcc_lo, 31, v21
	v_lshrrev_b32_e32 v25, v18, v19
	v_fmac_f16_e32 v20, v11, v28
	v_lshl_or_b32 v35, v26, 12, v7
	v_lshl_or_b32 v23, v23, 9, 0x7c00
	v_cndmask_b32_e32 v14, 0x7c00, v14, vcc_lo
	v_cmp_ne_u32_e32 vcc_lo, 0, v9
	v_lshlrev_b32_e32 v17, v18, v25
	v_lshrrev_b32_e32 v18, 8, v10
	v_and_b32_e32 v27, 0xffff, v27
	v_cndmask_b32_e64 v9, 0, 1, vcc_lo
	v_cmp_eq_u32_e32 vcc_lo, 0x40f, v21
	v_and_or_b32 v9, 0xffe, v18, v9
	v_cndmask_b32_e32 v14, v14, v23, vcc_lo
	v_sub_nc_u32_e32 v18, 0x3f1, v34
	v_cmp_ne_u32_e32 vcc_lo, v17, v19
	v_or_b32_e32 v21, 0x1000, v9
	v_and_or_b32 v14, 0x8000, v24, v14
	v_med3_i32 v23, v18, 0, 13
	v_cndmask_b32_e64 v17, 0, 1, vcc_lo
	v_cvt_f32_f16_e32 v18, v20
	v_add_co_u32 v19, vcc_lo, v5, s4
	v_add_co_ci_u32_e32 v20, vcc_lo, s5, v6, vcc_lo
	v_or_b32_e32 v25, v25, v17
	v_cvt_f64_f32_e32 v[17:18], v18
	v_lshrrev_b32_e32 v36, v23, v21
	v_cmp_gt_i32_e32 vcc_lo, 1, v26
	global_store_dword v[19:20], v22, off
	v_lshl_or_b32 v27, v14, 16, v27
	v_lshlrev_b32_e32 v23, v23, v36
	v_cndmask_b32_e32 v24, v35, v25, vcc_lo
	v_mul_f16_e32 v25, v32, v28
	v_cmp_ne_u32_e32 vcc_lo, v23, v21
	v_and_b32_e32 v19, 7, v24
	v_fma_f16 v11, v11, v33, -v25
	v_add_nc_u32_e32 v25, 0xfffffc10, v34
	v_mad_u64_u32 v[21:22], null, s8, 36, v[5:6]
	v_cndmask_b32_e64 v20, 0, 1, vcc_lo
	v_cvt_f32_f16_e32 v11, v11
	v_cmp_lt_i32_e32 vcc_lo, 5, v19
	v_cmp_eq_u32_e64 s0, 3, v19
	v_lshl_or_b32 v28, v25, 12, v9
	v_mul_f64 v[17:18], v[17:18], s[2:3]
	v_or_b32_e32 v23, v36, v20
	v_cvt_f64_f32_e32 v[19:20], v11
	v_lshrrev_b32_e32 v11, 2, v24
	v_cmp_gt_i32_e64 s1, 1, v25
	s_or_b32 vcc_lo, s0, vcc_lo
	v_add_co_ci_u32_e32 v11, vcc_lo, 0, v11, vcc_lo
	v_cndmask_b32_e64 v24, v28, v23, s1
	v_cmp_ne_u32_e32 vcc_lo, 0, v7
	v_mov_b32_e32 v7, v22
	v_cmp_eq_u32_e64 s1, 0x40f, v26
	v_and_b32_e32 v28, 7, v24
	v_cndmask_b32_e64 v23, 0, 1, vcc_lo
	v_cmp_gt_i32_e32 vcc_lo, 31, v26
	v_lshrrev_b32_e32 v26, 16, v8
	v_cmp_eq_u32_e64 s0, 3, v28
	v_lshl_or_b32 v14, v23, 9, 0x7c00
	v_cndmask_b32_e32 v11, 0x7c00, v11, vcc_lo
	v_cmp_lt_i32_e32 vcc_lo, 5, v28
	v_mad_u64_u32 v[22:23], null, s9, 36, v[7:8]
	v_lshrrev_b32_e32 v7, 2, v24
	v_and_or_b32 v17, 0x1ff, v18, v17
	s_or_b32 vcc_lo, s0, vcc_lo
	v_cndmask_b32_e64 v11, v11, v14, s1
	s_waitcnt lgkmcnt(1)
	v_lshrrev_b32_e32 v24, 16, v15
	v_add_co_ci_u32_e32 v7, vcc_lo, 0, v7, vcc_lo
	v_cmp_ne_u32_e32 vcc_lo, 0, v17
	v_lshrrev_b32_e32 v17, 8, v18
	v_mul_f64 v[19:20], v[19:20], s[2:3]
	v_bfe_u32 v23, v18, 20, 11
	v_and_or_b32 v11, 0x8000, v26, v11
	v_cndmask_b32_e64 v14, 0, 1, vcc_lo
	v_cmp_ne_u32_e32 vcc_lo, 0, v9
	global_store_dword v[21:22], v27, off
	v_sub_nc_u32_e32 v8, 0x3f1, v23
	v_lshrrev_b32_e32 v18, 16, v18
	v_and_or_b32 v17, 0xffe, v17, v14
	v_cndmask_b32_e64 v9, 0, 1, vcc_lo
	v_mul_f16_sdwa v14, v0, v24 dst_sel:DWORD dst_unused:UNUSED_PAD src0_sel:WORD_1 src1_sel:DWORD
	v_cmp_gt_i32_e32 vcc_lo, 31, v25
	v_med3_i32 v32, v8, 0, 13
	v_or_b32_e32 v28, 0x1000, v17
	v_lshl_or_b32 v9, v9, 9, 0x7c00
	v_fmac_f16_e32 v14, v0, v15
	v_cndmask_b32_e32 v7, 0x7c00, v7, vcc_lo
	v_cmp_eq_u32_e32 vcc_lo, 0x40f, v25
	v_lshrrev_b32_e32 v33, v32, v28
	v_cndmask_b32_e32 v25, v7, v9, vcc_lo
	v_cvt_f32_f16_e32 v9, v14
	v_lshrrev_b32_e32 v14, 16, v10
	v_and_or_b32 v19, 0x1ff, v20, v19
	v_lshrrev_b32_e32 v34, 8, v20
	v_bfe_u32 v35, v20, 20, 11
	v_cvt_f64_f32_e32 v[9:10], v9
	v_lshlrev_b32_e32 v32, v32, v33
	v_cmp_ne_u32_e32 vcc_lo, 0, v19
	v_and_or_b32 v25, 0x8000, v14, v25
	v_sub_nc_u32_e32 v14, 0x3f1, v35
	v_mad_u64_u32 v[7:8], null, s8, 40, v[5:6]
	v_cndmask_b32_e64 v19, 0, 1, vcc_lo
	v_cmp_ne_u32_e32 vcc_lo, v32, v28
	v_add_nc_u32_e32 v28, 0xfffffc10, v23
	v_med3_i32 v23, v14, 0, 13
	v_mul_f16_sdwa v14, v0, v15 dst_sel:DWORD dst_unused:UNUSED_PAD src0_sel:WORD_1 src1_sel:DWORD
	v_and_or_b32 v19, 0xffe, v34, v19
	v_cndmask_b32_e64 v26, 0, 1, vcc_lo
	v_cmp_gt_i32_e32 vcc_lo, 1, v28
	v_cmp_eq_u32_e64 s1, 0x40f, v28
	v_fma_f16 v0, v0, v24, -v14
	v_or_b32_e32 v32, 0x1000, v19
	v_or_b32_e32 v15, v33, v26
	v_lshl_or_b32 v26, v28, 12, v17
	v_cvt_f32_f16_e32 v0, v0
	v_mul_f64 v[9:10], v[9:10], s[2:3]
	v_lshrrev_b32_e32 v33, v23, v32
	v_cndmask_b32_e32 v26, v26, v15, vcc_lo
	v_mad_u64_u32 v[14:15], null, s9, 40, v[8:9]
	v_and_b32_e32 v8, 0xffff, v11
	v_lshlrev_b32_e32 v11, v23, v33
	v_and_b32_e32 v15, 7, v26
	v_cvt_f64_f32_e32 v[23:24], v0
	v_and_or_b32 v9, 0x1ff, v10, v9
	v_lshl_or_b32 v25, v25, 16, v8
	v_cmp_ne_u32_e64 s0, v11, v32
	v_cmp_lt_i32_e32 vcc_lo, 5, v15
	v_mov_b32_e32 v8, v14
	v_lshrrev_b32_e32 v14, 2, v26
	v_add_nc_u32_e32 v11, 0xfffffc10, v35
	v_cndmask_b32_e64 v0, 0, 1, s0
	v_cmp_eq_u32_e64 s0, 3, v15
	global_store_dword v[7:8], v25, off
	v_lshrrev_b32_e32 v21, 8, v10
	v_lshl_or_b32 v15, v11, 12, v19
	v_or_b32_e32 v0, v33, v0
	s_or_b32 vcc_lo, s0, vcc_lo
	v_bfe_u32 v22, v10, 20, 11
	v_add_co_ci_u32_e32 v14, vcc_lo, 0, v14, vcc_lo
	v_cmp_gt_i32_e32 vcc_lo, 1, v11
	v_mul_f64 v[7:8], v[23:24], s[2:3]
	v_cndmask_b32_e32 v0, v15, v0, vcc_lo
	v_cmp_gt_i32_e32 vcc_lo, 31, v28
	v_cndmask_b32_e32 v14, 0x7c00, v14, vcc_lo
	v_cmp_ne_u32_e32 vcc_lo, 0, v17
	v_and_b32_e32 v17, 7, v0
	v_lshrrev_b32_e32 v0, 2, v0
	v_cndmask_b32_e64 v15, 0, 1, vcc_lo
	v_cmp_ne_u32_e32 vcc_lo, 0, v9
	v_cmp_eq_u32_e64 s0, 3, v17
	v_lshl_or_b32 v15, v15, 9, 0x7c00
	v_cndmask_b32_e64 v9, 0, 1, vcc_lo
	v_cmp_lt_i32_e32 vcc_lo, 5, v17
	v_sub_nc_u32_e32 v17, 0x3f1, v22
	v_and_or_b32 v7, 0x1ff, v8, v7
	v_cndmask_b32_e64 v23, v14, v15, s1
	v_and_or_b32 v9, 0xffe, v21, v9
	v_lshrrev_b32_e32 v21, 16, v16
	s_or_b32 vcc_lo, s0, vcc_lo
	v_med3_i32 v17, v17, 0, 13
	v_add_co_ci_u32_e32 v0, vcc_lo, 0, v0, vcc_lo
	v_mul_f16_e32 v14, v31, v21
	v_or_b32_e32 v24, 0x1000, v9
	v_cmp_ne_u32_e32 vcc_lo, 0, v19
	v_lshrrev_b32_e32 v26, 8, v8
	v_bfe_u32 v27, v8, 20, 11
	v_fmac_f16_e32 v14, v1, v16
	v_lshrrev_b32_e32 v25, v17, v24
	v_cndmask_b32_e64 v19, 0, 1, vcc_lo
	v_cmp_gt_i32_e32 vcc_lo, 31, v11
	v_add_nc_u32_e32 v22, 0xfffffc10, v22
	v_cvt_f32_f16_e32 v14, v14
	v_lshlrev_b32_e32 v17, v17, v25
	v_lshl_or_b32 v19, v19, 9, 0x7c00
	v_cndmask_b32_e32 v0, 0x7c00, v0, vcc_lo
	v_cmp_ne_u32_e32 vcc_lo, 0, v7
	v_cvt_f64_f32_e32 v[14:15], v14
	v_mul_f16_e32 v16, v31, v16
	v_and_or_b32 v18, 0x8000, v18, v23
	v_lshrrev_b32_e32 v8, 16, v8
	v_cndmask_b32_e64 v7, 0, 1, vcc_lo
	v_cmp_ne_u32_e32 vcc_lo, v17, v24
	v_fma_f16 v16, v1, v21, -v16
	v_and_or_b32 v7, 0xffe, v26, v7
	v_cndmask_b32_e64 v17, 0, 1, vcc_lo
	v_cmp_eq_u32_e32 vcc_lo, 0x40f, v11
	v_sub_nc_u32_e32 v26, 0x3f1, v27
	v_cvt_f32_f16_e32 v16, v16
	v_or_b32_e32 v24, 0x1000, v7
	v_or_b32_e32 v17, v25, v17
	v_cndmask_b32_e32 v11, v0, v19, vcc_lo
	v_lshl_or_b32 v19, v22, 12, v9
	v_cmp_gt_i32_e32 vcc_lo, 1, v22
	v_med3_i32 v26, v26, 0, 13
	v_mad_u64_u32 v[0:1], null, s8, 44, v[5:6]
	v_mul_f64 v[14:15], v[14:15], s[2:3]
	v_cndmask_b32_e32 v21, v19, v17, vcc_lo
	v_lshrrev_b32_e32 v25, v26, v24
	v_lshrrev_b32_e32 v19, 16, v20
	v_cvt_f64_f32_e32 v[16:17], v16
	v_and_b32_e32 v23, 7, v21
	v_lshlrev_b32_e32 v20, v26, v25
	v_and_or_b32 v11, 0x8000, v19, v11
	v_and_b32_e32 v26, 0xffff, v18
	v_mad_u64_u32 v[18:19], null, s9, 44, v[1:2]
	v_cmp_lt_i32_e32 vcc_lo, 5, v23
	v_cmp_eq_u32_e64 s0, 3, v23
	v_lshrrev_b32_e32 v1, 2, v21
	v_cmp_ne_u32_e64 s1, v20, v24
	v_add_nc_u32_e32 v23, 0xfffffc10, v27
	v_lshl_or_b32 v11, v11, 16, v26
	s_or_b32 vcc_lo, s0, vcc_lo
	v_add_co_ci_u32_e32 v1, vcc_lo, 0, v1, vcc_lo
	v_cndmask_b32_e64 v20, 0, 1, s1
	v_cmp_ne_u32_e32 vcc_lo, 0, v9
	v_and_or_b32 v14, 0x1ff, v15, v14
	v_bfe_u32 v21, v15, 20, 11
	v_mul_f64 v[16:17], v[16:17], s[2:3]
	v_or_b32_e32 v19, v25, v20
	v_lshl_or_b32 v20, v23, 12, v7
	v_cndmask_b32_e64 v9, 0, 1, vcc_lo
	v_cmp_gt_i32_e32 vcc_lo, 1, v23
	s_waitcnt lgkmcnt(0)
	v_lshrrev_b32_e32 v25, 16, v12
	v_lshl_or_b32 v9, v9, 9, 0x7c00
	v_cndmask_b32_e32 v19, v20, v19, vcc_lo
	v_cmp_ne_u32_e32 vcc_lo, 0, v14
	v_lshrrev_b32_e32 v20, 8, v15
	v_lshrrev_b32_e32 v15, 16, v15
	v_and_b32_e32 v24, 7, v19
	v_cndmask_b32_e64 v14, 0, 1, vcc_lo
	v_cmp_gt_i32_e32 vcc_lo, 31, v22
	v_lshrrev_b32_e32 v19, 2, v19
	v_cmp_eq_u32_e64 s0, 3, v24
	v_and_or_b32 v14, 0xffe, v20, v14
	v_cndmask_b32_e32 v1, 0x7c00, v1, vcc_lo
	v_cmp_eq_u32_e32 vcc_lo, 0x40f, v22
	v_sub_nc_u32_e32 v20, 0x3f1, v21
	v_and_or_b32 v16, 0x1ff, v17, v16
	v_add_nc_u32_e32 v21, 0xfffffc10, v21
	v_bfe_u32 v27, v17, 20, 11
	v_cndmask_b32_e32 v22, v1, v9, vcc_lo
	v_cmp_lt_i32_e32 vcc_lo, 5, v24
	v_med3_i32 v9, v20, 0, 13
	v_lshrrev_b32_e32 v20, 16, v10
	v_or_b32_e32 v1, 0x1000, v14
	v_sub_nc_u32_e32 v28, 0x3f1, v27
	s_or_b32 vcc_lo, s0, vcc_lo
	v_add_co_ci_u32_e32 v10, vcc_lo, 0, v19, vcc_lo
	v_cmp_ne_u32_e32 vcc_lo, 0, v7
	v_mul_f16_sdwa v19, v2, v25 dst_sel:DWORD dst_unused:UNUSED_PAD src0_sel:WORD_1 src1_sel:DWORD
	v_lshrrev_b32_e32 v24, v9, v1
	v_med3_i32 v28, v28, 0, 13
	v_and_or_b32 v20, 0x8000, v20, v22
	v_cndmask_b32_e64 v7, 0, 1, vcc_lo
	v_cmp_gt_i32_e32 vcc_lo, 31, v23
	v_fmac_f16_e32 v19, v2, v12
	v_lshlrev_b32_e32 v9, v9, v24
	v_mul_f16_sdwa v12, v2, v12 dst_sel:DWORD dst_unused:UNUSED_PAD src0_sel:WORD_1 src1_sel:DWORD
	v_lshl_or_b32 v7, v7, 9, 0x7c00
	v_cndmask_b32_e32 v26, 0x7c00, v10, vcc_lo
	v_cmp_ne_u32_e32 vcc_lo, 0, v16
	v_lshrrev_b32_e32 v16, 8, v17
	v_cvt_f32_f16_e32 v19, v19
	v_and_b32_e32 v20, 0xffff, v20
	v_cndmask_b32_e64 v10, 0, 1, vcc_lo
	v_cmp_ne_u32_e32 vcc_lo, v9, v1
	v_and_or_b32 v16, 0xffe, v16, v10
	v_cvt_f64_f32_e32 v[9:10], v19
	v_cndmask_b32_e64 v1, 0, 1, vcc_lo
	v_cmp_gt_i32_e32 vcc_lo, 1, v21
	v_or_b32_e32 v31, 0x1000, v16
	v_or_b32_e32 v19, v24, v1
	v_lshl_or_b32 v24, v21, 12, v14
	v_mov_b32_e32 v1, v18
	v_cndmask_b32_e32 v18, v24, v19, vcc_lo
	v_cmp_eq_u32_e32 vcc_lo, 0x40f, v23
	v_lshrrev_b32_e32 v19, v28, v31
	global_store_dword v[0:1], v11, off
	v_fma_f16 v0, v2, v25, -v12
	v_and_b32_e32 v22, 7, v18
	v_cndmask_b32_e32 v7, v26, v7, vcc_lo
	v_lshlrev_b32_e32 v23, v28, v19
	v_lshrrev_b32_e32 v1, 2, v18
	v_cvt_f32_f16_e32 v0, v0
	v_cmp_lt_i32_e32 vcc_lo, 5, v22
	v_and_or_b32 v12, 0x8000, v8, v7
	v_mul_f64 v[8:9], v[9:10], s[2:3]
	v_cmp_eq_u32_e64 s0, 3, v22
	v_cmp_ne_u32_e64 s1, v23, v31
	v_cvt_f64_f32_e32 v[10:11], v0
	v_add_nc_u32_e32 v18, 0xfffffc10, v27
	v_lshrrev_b32_e32 v22, 16, v13
	s_or_b32 vcc_lo, s0, vcc_lo
	v_cndmask_b32_e64 v2, 0, 1, s1
	v_add_co_ci_u32_e32 v7, vcc_lo, 0, v1, vcc_lo
	v_cmp_ne_u32_e32 vcc_lo, 0, v14
	v_mad_u64_u32 v[0:1], null, s8, 48, v[5:6]
	v_or_b32_e32 v2, v19, v2
	v_lshl_or_b32 v19, v18, 12, v16
	v_cndmask_b32_e64 v14, 0, 1, vcc_lo
	v_cmp_gt_i32_e32 vcc_lo, 1, v18
	v_cndmask_b32_e32 v19, v19, v2, vcc_lo
	v_cmp_gt_i32_e32 vcc_lo, 31, v21
	v_and_or_b32 v8, 0x1ff, v9, v8
	v_mul_f64 v[10:11], v[10:11], s[2:3]
	v_cndmask_b32_e32 v2, 0x7c00, v7, vcc_lo
	v_lshl_or_b32 v7, v14, 9, 0x7c00
	v_and_b32_e32 v14, 7, v19
	v_cmp_eq_u32_e32 vcc_lo, 0x40f, v21
	v_cmp_ne_u32_e64 s1, 0, v8
	v_bfe_u32 v21, v9, 20, 11
	v_cmp_eq_u32_e64 s0, 3, v14
	v_cndmask_b32_e32 v7, v2, v7, vcc_lo
	v_cmp_lt_i32_e32 vcc_lo, 5, v14
	v_cndmask_b32_e64 v8, 0, 1, s1
	v_lshrrev_b32_e32 v14, 8, v9
	v_mad_u64_u32 v[1:2], null, s9, 48, v[1:2]
	s_or_b32 vcc_lo, s0, vcc_lo
	v_sub_nc_u32_e32 v2, 0x3f1, v21
	v_and_or_b32 v23, 0xffe, v14, v8
	v_lshrrev_b32_e32 v14, 2, v19
	v_mul_f16_e32 v8, v30, v22
	v_and_or_b32 v19, 0x8000, v15, v7
	v_med3_i32 v2, v2, 0, 13
	v_or_b32_e32 v24, 0x1000, v23
	v_add_co_ci_u32_e32 v7, vcc_lo, 0, v14, vcc_lo
	v_fmac_f16_e32 v8, v3, v13
	v_cmp_ne_u32_e32 vcc_lo, 0, v16
	v_lshrrev_b32_e32 v25, v2, v24
	v_and_or_b32 v10, 0x1ff, v11, v10
	v_lshrrev_b32_e32 v27, 8, v11
	v_cvt_f32_f16_e32 v8, v8
	v_cndmask_b32_e64 v14, 0, 1, vcc_lo
	v_cmp_gt_i32_e32 vcc_lo, 31, v18
	v_lshlrev_b32_e32 v2, v2, v25
	v_bfe_u32 v28, v11, 20, 11
	v_add_nc_u32_e32 v21, 0xfffffc10, v21
	v_lshl_or_b32 v26, v14, 9, 0x7c00
	v_cvt_f64_f32_e32 v[14:15], v8
	v_cndmask_b32_e32 v16, 0x7c00, v7, vcc_lo
	v_cmp_ne_u32_e32 vcc_lo, 0, v10
	v_mad_u64_u32 v[7:8], null, s8, 52, v[5:6]
	v_mul_f16_e32 v13, v30, v13
	v_and_b32_e32 v19, 0xffff, v19
	v_cndmask_b32_e64 v10, 0, 1, vcc_lo
	v_cmp_ne_u32_e32 vcc_lo, v2, v24
	v_lshrrev_b32_e32 v11, 16, v11
	v_and_or_b32 v24, 0xffe, v27, v10
	v_cndmask_b32_e64 v2, 0, 1, vcc_lo
	v_cmp_eq_u32_e32 vcc_lo, 0x40f, v18
	v_sub_nc_u32_e32 v10, 0x3f1, v28
	v_or_b32_e32 v27, 0x1000, v24
	v_cndmask_b32_e32 v18, v16, v26, vcc_lo
	v_or_b32_e32 v16, v25, v2
	v_lshl_or_b32 v25, v21, 12, v23
	v_cmp_gt_i32_e32 vcc_lo, 1, v21
	v_mul_f64 v[14:15], v[14:15], s[2:3]
	v_mov_b32_e32 v2, v8
	v_med3_i32 v8, v10, 0, 13
	v_lshrrev_b32_e32 v26, 16, v17
	v_cndmask_b32_e32 v10, v25, v16, vcc_lo
	v_mad_u64_u32 v[16:17], null, s9, 52, v[2:3]
	v_lshrrev_b32_e32 v17, v8, v27
	v_lshl_or_b32 v2, v12, 16, v20
	v_and_b32_e32 v12, 7, v10
	v_fma_f16 v3, v3, v22, -v13
	v_lshrrev_b32_e32 v10, 2, v10
	v_lshlrev_b32_e32 v20, v8, v17
	v_and_or_b32 v18, 0x8000, v26, v18
	v_cmp_lt_i32_e32 vcc_lo, 5, v12
	v_cmp_eq_u32_e64 s0, 3, v12
	v_cvt_f32_f16_e32 v3, v3
	v_cmp_ne_u32_e64 s1, v20, v27
	v_mov_b32_e32 v8, v16
	ds_read_b32 v16, v29 offset:64
	s_or_b32 vcc_lo, s0, vcc_lo
	v_cvt_f64_f32_e32 v[12:13], v3
	v_add_co_ci_u32_e32 v3, vcc_lo, 0, v10, vcc_lo
	v_lshl_or_b32 v18, v18, 16, v19
	v_cndmask_b32_e64 v19, 0, 1, s1
	v_and_or_b32 v14, 0x1ff, v15, v14
	v_cmp_ne_u32_e32 vcc_lo, 0, v23
	v_add_nc_u32_e32 v20, 0xfffffc10, v28
	v_lshrrev_b32_e32 v22, 8, v15
	v_or_b32_e32 v10, v17, v19
	v_cndmask_b32_e64 v19, 0, 1, vcc_lo
	v_cmp_ne_u32_e32 vcc_lo, 0, v14
	v_lshl_or_b32 v17, v20, 12, v24
	v_lshl_or_b32 v19, v19, 9, 0x7c00
	v_cndmask_b32_e64 v14, 0, 1, vcc_lo
	v_cmp_gt_i32_e32 vcc_lo, 1, v20
	s_waitcnt lgkmcnt(0)
	v_lshrrev_b32_e32 v23, 16, v16
	v_and_or_b32 v14, 0xffe, v22, v14
	v_cndmask_b32_e32 v10, v17, v10, vcc_lo
	v_bfe_u32 v17, v15, 20, 11
	v_cmp_gt_i32_e32 vcc_lo, 31, v21
	v_mul_f16_sdwa v25, v4, v23 dst_sel:DWORD dst_unused:UNUSED_PAD src0_sel:WORD_1 src1_sel:DWORD
	v_or_b32_e32 v27, 0x1000, v14
	v_and_b32_e32 v26, 7, v10
	v_sub_nc_u32_e32 v22, 0x3f1, v17
	v_cndmask_b32_e32 v3, 0x7c00, v3, vcc_lo
	v_cmp_eq_u32_e32 vcc_lo, 0x40f, v21
	v_mul_f64 v[12:13], v[12:13], s[2:3]
	v_fmac_f16_e32 v25, v4, v16
	v_med3_i32 v22, v22, 0, 13
	v_cmp_eq_u32_e64 s0, 3, v26
	v_cndmask_b32_e32 v19, v3, v19, vcc_lo
	v_cmp_lt_i32_e32 vcc_lo, 5, v26
	v_lshrrev_b32_e32 v21, 16, v9
	v_lshrrev_b32_e32 v3, v22, v27
	v_cvt_f32_f16_e32 v9, v25
	v_mul_f16_sdwa v16, v4, v16 dst_sel:DWORD dst_unused:UNUSED_PAD src0_sel:WORD_1 src1_sel:DWORD
	v_lshrrev_b32_e32 v25, 2, v10
	s_or_b32 vcc_lo, s0, vcc_lo
	v_lshlrev_b32_e32 v22, v22, v3
	v_cvt_f64_f32_e32 v[9:10], v9
	v_fma_f16 v4, v4, v23, -v16
	v_add_co_ci_u32_e32 v16, vcc_lo, 0, v25, vcc_lo
	v_cmp_ne_u32_e32 vcc_lo, v22, v27
	v_add_nc_u32_e32 v23, 0xfffffc10, v17
	v_cvt_f32_f16_e32 v4, v4
	v_and_or_b32 v19, 0x8000, v21, v19
	v_lshrrev_b32_e32 v15, 16, v15
	v_cndmask_b32_e64 v22, 0, 1, vcc_lo
	v_cmp_ne_u32_e32 vcc_lo, 0, v24
	v_and_or_b32 v12, 0x1ff, v13, v12
	v_lshl_or_b32 v24, v23, 12, v14
	v_lshrrev_b32_e32 v25, 8, v13
	v_or_b32_e32 v22, v3, v22
	v_cndmask_b32_e64 v17, 0, 1, vcc_lo
	v_cmp_gt_i32_e32 vcc_lo, 31, v20
	v_cvt_f64_f32_e32 v[3:4], v4
	v_bfe_u32 v26, v13, 20, 11
	v_lshrrev_b32_e32 v13, 16, v13
	v_lshl_or_b32 v17, v17, 9, 0x7c00
	v_cndmask_b32_e32 v16, 0x7c00, v16, vcc_lo
	v_cmp_ne_u32_e32 vcc_lo, 0, v12
	v_mul_f64 v[9:10], v[9:10], s[2:3]
	v_and_b32_e32 v19, 0xffff, v19
	v_cndmask_b32_e64 v12, 0, 1, vcc_lo
	v_cmp_gt_i32_e32 vcc_lo, 1, v23
	v_cndmask_b32_e32 v22, v24, v22, vcc_lo
	v_cmp_eq_u32_e32 vcc_lo, 0x40f, v20
	v_and_or_b32 v20, 0xffe, v25, v12
	v_sub_nc_u32_e32 v12, 0x3f1, v26
	v_cndmask_b32_e32 v16, v16, v17, vcc_lo
	v_and_b32_e32 v17, 7, v22
	v_or_b32_e32 v21, 0x1000, v20
	v_med3_i32 v24, v12, 0, 13
	v_mul_f64 v[3:4], v[3:4], s[2:3]
	v_and_or_b32 v25, 0x8000, v11, v16
	v_cmp_lt_i32_e32 vcc_lo, 5, v17
	v_cmp_eq_u32_e64 s0, 3, v17
	v_lshrrev_b32_e32 v17, 2, v22
	v_lshrrev_b32_e32 v16, v24, v21
	v_mad_u64_u32 v[11:12], null, s8, 56, v[5:6]
	s_or_b32 vcc_lo, s0, vcc_lo
	v_bfe_u32 v27, v10, 20, 11
	v_add_co_ci_u32_e32 v17, vcc_lo, 0, v17, vcc_lo
	v_lshlrev_b32_e32 v22, v24, v16
	v_and_or_b32 v24, 0x1ff, v10, v9
	v_cmp_ne_u32_e32 vcc_lo, 0, v14
	v_mov_b32_e32 v9, v12
	v_cndmask_b32_e64 v14, 0, 1, vcc_lo
	v_cmp_ne_u32_e32 vcc_lo, 0, v24
	v_lshrrev_b32_e32 v24, 8, v10
	v_and_or_b32 v3, 0x1ff, v4, v3
	v_bfe_u32 v29, v4, 20, 11
	v_lshl_or_b32 v14, v14, 9, 0x7c00
	v_cndmask_b32_e64 v12, 0, 1, vcc_lo
	v_cmp_gt_i32_e32 vcc_lo, 31, v23
	v_sub_nc_u32_e32 v31, 0x3f1, v29
	v_and_or_b32 v12, 0xffe, v24, v12
	v_cndmask_b32_e32 v28, 0x7c00, v17, vcc_lo
	v_cmp_ne_u32_e32 vcc_lo, v22, v21
	v_sub_nc_u32_e32 v17, 0x3f1, v27
	v_add_nc_u32_e32 v22, 0xfffffc10, v26
	v_or_b32_e32 v24, 0x1000, v12
	v_cndmask_b32_e64 v21, 0, 1, vcc_lo
	v_cmp_ne_u32_e32 vcc_lo, 0, v3
	v_med3_i32 v26, v17, 0, 13
	v_lshrrev_b32_e32 v17, 8, v4
	v_or_b32_e32 v16, v16, v21
	v_cndmask_b32_e64 v3, 0, 1, vcc_lo
	v_lshl_or_b32 v21, v22, 12, v20
	v_cmp_gt_i32_e32 vcc_lo, 1, v22
	v_lshrrev_b32_e32 v30, v26, v24
	v_and_or_b32 v3, 0xffe, v17, v3
	v_cndmask_b32_e32 v21, v21, v16, vcc_lo
	v_mad_u64_u32 v[16:17], null, s9, 56, v[9:10]
	v_lshlrev_b32_e32 v9, v26, v30
	v_or_b32_e32 v17, 0x1000, v3
	v_med3_i32 v26, v31, 0, 13
	v_cmp_eq_u32_e32 vcc_lo, 0x40f, v23
	v_and_b32_e32 v31, 7, v21
	v_cmp_ne_u32_e64 s0, v9, v24
	v_add_nc_u32_e32 v24, 0xfffffc10, v27
	v_lshrrev_b32_e32 v23, v26, v17
	v_cndmask_b32_e32 v14, v28, v14, vcc_lo
	v_cmp_lt_i32_e32 vcc_lo, 5, v31
	v_cndmask_b32_e64 v9, 0, 1, s0
	v_cmp_eq_u32_e64 s0, 3, v31
	v_lshlrev_b32_e32 v26, v26, v23
	v_lshrrev_b32_e32 v21, 2, v21
	v_lshl_or_b32 v27, v24, 12, v12
	v_or_b32_e32 v9, v30, v9
	s_or_b32 vcc_lo, s0, vcc_lo
	v_cmp_ne_u32_e64 s1, v26, v17
	v_add_co_ci_u32_e32 v21, vcc_lo, 0, v21, vcc_lo
	v_add_nc_u32_e32 v26, 0xfffffc10, v29
	v_cmp_ne_u32_e32 vcc_lo, 0, v20
	v_cndmask_b32_e64 v17, 0, 1, s1
	v_cmp_gt_i32_e64 s1, 1, v24
	v_and_or_b32 v28, 0x8000, v15, v14
	v_lshrrev_b32_e32 v10, 16, v10
	v_cndmask_b32_e64 v20, 0, 1, vcc_lo
	v_or_b32_e32 v17, v23, v17
	v_cndmask_b32_e64 v9, v27, v9, s1
	v_lshl_or_b32 v23, v26, 12, v3
	v_cmp_gt_i32_e32 vcc_lo, 1, v26
	v_cmp_gt_i32_e64 s1, 31, v22
	v_lshl_or_b32 v20, v20, 9, 0x7c00
	v_and_b32_e32 v27, 7, v9
	v_lshrrev_b32_e32 v9, 2, v9
	v_cndmask_b32_e32 v14, v23, v17, vcc_lo
	v_cndmask_b32_e64 v17, 0x7c00, v21, s1
	v_cmp_gt_i32_e64 s1, 31, v24
	v_cmp_lt_i32_e32 vcc_lo, 5, v27
	v_cmp_eq_u32_e64 s0, 3, v27
	v_and_b32_e32 v15, 7, v14
	v_lshrrev_b32_e32 v14, 2, v14
	s_or_b32 vcc_lo, s0, vcc_lo
	v_cmp_eq_u32_e64 s0, 3, v15
	v_add_co_ci_u32_e32 v9, vcc_lo, 0, v9, vcc_lo
	v_cmp_ne_u32_e32 vcc_lo, 0, v12
	v_cndmask_b32_e64 v9, 0x7c00, v9, s1
	v_cndmask_b32_e64 v12, 0, 1, vcc_lo
	v_cmp_lt_i32_e32 vcc_lo, 5, v15
	v_lshl_or_b32 v12, v12, 9, 0x7c00
	s_or_b32 vcc_lo, s0, vcc_lo
	s_lshl_b64 s[0:1], s[8:9], 6
	v_add_co_ci_u32_e32 v21, vcc_lo, 0, v14, vcc_lo
	v_cmp_ne_u32_e32 vcc_lo, 0, v3
	v_mad_u64_u32 v[14:15], null, s8, 60, v[5:6]
	v_cndmask_b32_e64 v3, 0, 1, vcc_lo
	v_cmp_eq_u32_e32 vcc_lo, 0x40f, v24
	v_cndmask_b32_e32 v9, v9, v12, vcc_lo
	v_cmp_gt_i32_e32 vcc_lo, 31, v26
	v_and_or_b32 v9, 0x8000, v10, v9
	v_cndmask_b32_e32 v12, 0x7c00, v21, vcc_lo
	v_cmp_eq_u32_e32 vcc_lo, 0x40f, v22
	v_lshl_or_b32 v21, v3, 9, 0x7c00
	v_mov_b32_e32 v3, v15
	v_and_b32_e32 v9, 0xffff, v9
	v_cndmask_b32_e32 v17, v17, v20, vcc_lo
	v_cmp_eq_u32_e32 vcc_lo, 0x40f, v26
	v_cndmask_b32_e32 v10, v12, v21, vcc_lo
	v_lshrrev_b32_e32 v12, 16, v4
	v_mad_u64_u32 v[3:4], null, s9, 60, v[3:4]
	v_and_or_b32 v4, 0x8000, v13, v17
	v_and_b32_e32 v13, 0xffff, v28
	v_and_or_b32 v10, 0x8000, v12, v10
	v_lshl_or_b32 v17, v25, 16, v19
	v_mov_b32_e32 v12, v16
	v_mov_b32_e32 v15, v3
	v_add_co_u32 v3, vcc_lo, v5, s0
	v_lshl_or_b32 v13, v4, 16, v13
	v_lshl_or_b32 v9, v10, 16, v9
	v_add_co_ci_u32_e32 v4, vcc_lo, s1, v6, vcc_lo
	global_store_dword v[0:1], v2, off
	global_store_dword v[7:8], v18, off
	;; [unrolled: 1-line block ×5, first 2 shown]
.LBB0_2:
	s_endpgm
	.section	.rodata,"a",@progbits
	.p2align	6, 0x0
	.amdhsa_kernel bluestein_single_back_len17_dim1_half_op_CI_CI
		.amdhsa_group_segment_fixed_size 8160
		.amdhsa_private_segment_fixed_size 0
		.amdhsa_kernarg_size 104
		.amdhsa_user_sgpr_count 6
		.amdhsa_user_sgpr_private_segment_buffer 1
		.amdhsa_user_sgpr_dispatch_ptr 0
		.amdhsa_user_sgpr_queue_ptr 0
		.amdhsa_user_sgpr_kernarg_segment_ptr 1
		.amdhsa_user_sgpr_dispatch_id 0
		.amdhsa_user_sgpr_flat_scratch_init 0
		.amdhsa_user_sgpr_private_segment_size 0
		.amdhsa_wavefront_size32 1
		.amdhsa_uses_dynamic_stack 0
		.amdhsa_system_sgpr_private_segment_wavefront_offset 0
		.amdhsa_system_sgpr_workgroup_id_x 1
		.amdhsa_system_sgpr_workgroup_id_y 0
		.amdhsa_system_sgpr_workgroup_id_z 0
		.amdhsa_system_sgpr_workgroup_info 0
		.amdhsa_system_vgpr_workitem_id 0
		.amdhsa_next_free_vgpr 129
		.amdhsa_next_free_sgpr 18
		.amdhsa_reserve_vcc 1
		.amdhsa_reserve_flat_scratch 0
		.amdhsa_float_round_mode_32 0
		.amdhsa_float_round_mode_16_64 0
		.amdhsa_float_denorm_mode_32 3
		.amdhsa_float_denorm_mode_16_64 3
		.amdhsa_dx10_clamp 1
		.amdhsa_ieee_mode 1
		.amdhsa_fp16_overflow 0
		.amdhsa_workgroup_processor_mode 1
		.amdhsa_memory_ordered 1
		.amdhsa_forward_progress 0
		.amdhsa_shared_vgpr_count 0
		.amdhsa_exception_fp_ieee_invalid_op 0
		.amdhsa_exception_fp_denorm_src 0
		.amdhsa_exception_fp_ieee_div_zero 0
		.amdhsa_exception_fp_ieee_overflow 0
		.amdhsa_exception_fp_ieee_underflow 0
		.amdhsa_exception_fp_ieee_inexact 0
		.amdhsa_exception_int_div_zero 0
	.end_amdhsa_kernel
	.text
.Lfunc_end0:
	.size	bluestein_single_back_len17_dim1_half_op_CI_CI, .Lfunc_end0-bluestein_single_back_len17_dim1_half_op_CI_CI
                                        ; -- End function
	.section	.AMDGPU.csdata,"",@progbits
; Kernel info:
; codeLenInByte = 22756
; NumSgprs: 20
; NumVgprs: 129
; ScratchSize: 0
; MemoryBound: 0
; FloatMode: 240
; IeeeMode: 1
; LDSByteSize: 8160 bytes/workgroup (compile time only)
; SGPRBlocks: 2
; VGPRBlocks: 16
; NumSGPRsForWavesPerEU: 20
; NumVGPRsForWavesPerEU: 129
; Occupancy: 7
; WaveLimiterHint : 1
; COMPUTE_PGM_RSRC2:SCRATCH_EN: 0
; COMPUTE_PGM_RSRC2:USER_SGPR: 6
; COMPUTE_PGM_RSRC2:TRAP_HANDLER: 0
; COMPUTE_PGM_RSRC2:TGID_X_EN: 1
; COMPUTE_PGM_RSRC2:TGID_Y_EN: 0
; COMPUTE_PGM_RSRC2:TGID_Z_EN: 0
; COMPUTE_PGM_RSRC2:TIDIG_COMP_CNT: 0
	.text
	.p2alignl 6, 3214868480
	.fill 48, 4, 3214868480
	.type	__hip_cuid_aad85fe05ed486f7,@object ; @__hip_cuid_aad85fe05ed486f7
	.section	.bss,"aw",@nobits
	.globl	__hip_cuid_aad85fe05ed486f7
__hip_cuid_aad85fe05ed486f7:
	.byte	0                               ; 0x0
	.size	__hip_cuid_aad85fe05ed486f7, 1

	.ident	"AMD clang version 19.0.0git (https://github.com/RadeonOpenCompute/llvm-project roc-6.4.0 25133 c7fe45cf4b819c5991fe208aaa96edf142730f1d)"
	.section	".note.GNU-stack","",@progbits
	.addrsig
	.addrsig_sym __hip_cuid_aad85fe05ed486f7
	.amdgpu_metadata
---
amdhsa.kernels:
  - .args:
      - .actual_access:  read_only
        .address_space:  global
        .offset:         0
        .size:           8
        .value_kind:     global_buffer
      - .actual_access:  read_only
        .address_space:  global
        .offset:         8
        .size:           8
        .value_kind:     global_buffer
      - .actual_access:  read_only
        .address_space:  global
        .offset:         16
        .size:           8
        .value_kind:     global_buffer
      - .actual_access:  read_only
        .address_space:  global
        .offset:         24
        .size:           8
        .value_kind:     global_buffer
      - .actual_access:  read_only
        .address_space:  global
        .offset:         32
        .size:           8
        .value_kind:     global_buffer
      - .offset:         40
        .size:           8
        .value_kind:     by_value
      - .address_space:  global
        .offset:         48
        .size:           8
        .value_kind:     global_buffer
      - .address_space:  global
        .offset:         56
        .size:           8
        .value_kind:     global_buffer
      - .address_space:  global
        .offset:         64
        .size:           8
        .value_kind:     global_buffer
      - .address_space:  global
        .offset:         72
        .size:           8
        .value_kind:     global_buffer
      - .offset:         80
        .size:           4
        .value_kind:     by_value
      - .address_space:  global
        .offset:         88
        .size:           8
        .value_kind:     global_buffer
      - .address_space:  global
        .offset:         96
        .size:           8
        .value_kind:     global_buffer
    .group_segment_fixed_size: 8160
    .kernarg_segment_align: 8
    .kernarg_segment_size: 104
    .language:       OpenCL C
    .language_version:
      - 2
      - 0
    .max_flat_workgroup_size: 120
    .name:           bluestein_single_back_len17_dim1_half_op_CI_CI
    .private_segment_fixed_size: 0
    .sgpr_count:     20
    .sgpr_spill_count: 0
    .symbol:         bluestein_single_back_len17_dim1_half_op_CI_CI.kd
    .uniform_work_group_size: 1
    .uses_dynamic_stack: false
    .vgpr_count:     129
    .vgpr_spill_count: 0
    .wavefront_size: 32
    .workgroup_processor_mode: 1
amdhsa.target:   amdgcn-amd-amdhsa--gfx1030
amdhsa.version:
  - 1
  - 2
...

	.end_amdgpu_metadata
